;; amdgpu-corpus repo=ROCm/rocFFT kind=compiled arch=gfx906 opt=O3
	.text
	.amdgcn_target "amdgcn-amd-amdhsa--gfx906"
	.amdhsa_code_object_version 6
	.protected	bluestein_single_back_len1428_dim1_sp_op_CI_CI ; -- Begin function bluestein_single_back_len1428_dim1_sp_op_CI_CI
	.globl	bluestein_single_back_len1428_dim1_sp_op_CI_CI
	.p2align	8
	.type	bluestein_single_back_len1428_dim1_sp_op_CI_CI,@function
bluestein_single_back_len1428_dim1_sp_op_CI_CI: ; @bluestein_single_back_len1428_dim1_sp_op_CI_CI
; %bb.0:
	s_mov_b64 s[26:27], s[2:3]
	s_mov_b64 s[24:25], s[0:1]
	s_load_dwordx4 s[0:3], s[4:5], 0x28
	v_mul_u32_u24_e32 v1, 0x227, v0
	v_add_u32_sdwa v179, s6, v1 dst_sel:DWORD dst_unused:UNUSED_PAD src0_sel:DWORD src1_sel:WORD_1
	v_mov_b32_e32 v180, 0
	s_add_u32 s24, s24, s7
	s_waitcnt lgkmcnt(0)
	v_cmp_gt_u64_e32 vcc, s[0:1], v[179:180]
	s_addc_u32 s25, s25, 0
	s_and_saveexec_b64 s[0:1], vcc
	s_cbranch_execz .LBB0_23
; %bb.1:
	s_load_dwordx2 s[8:9], s[4:5], 0x0
	s_load_dwordx2 s[10:11], s[4:5], 0x38
	s_movk_i32 s0, 0x77
	v_mul_lo_u16_sdwa v1, v1, s0 dst_sel:DWORD dst_unused:UNUSED_PAD src0_sel:WORD_1 src1_sel:DWORD
	v_sub_u16_e32 v104, v0, v1
	s_movk_i32 s0, 0x54
	v_cmp_gt_u16_e64 s[0:1], s0, v104
	v_lshlrev_b32_e32 v103, 3, v104
	s_and_saveexec_b64 s[6:7], s[0:1]
	s_cbranch_execz .LBB0_3
; %bb.2:
	s_load_dwordx2 s[12:13], s[4:5], 0x18
	s_waitcnt lgkmcnt(0)
	s_load_dwordx4 s[12:15], s[12:13], 0x0
	s_waitcnt lgkmcnt(0)
	v_mad_u64_u32 v[0:1], s[16:17], s14, v179, 0
	v_mad_u64_u32 v[2:3], s[16:17], s12, v104, 0
	;; [unrolled: 1-line block ×4, first 2 shown]
	v_mov_b32_e32 v1, v4
	v_lshlrev_b64 v[0:1], 3, v[0:1]
	v_mov_b32_e32 v3, v5
	v_mov_b32_e32 v6, s3
	v_lshlrev_b64 v[2:3], 3, v[2:3]
	v_add_co_u32_e32 v0, vcc, s2, v0
	v_addc_co_u32_e32 v1, vcc, v6, v1, vcc
	v_add_co_u32_e32 v0, vcc, v0, v2
	v_addc_co_u32_e32 v1, vcc, v1, v3, vcc
	v_mov_b32_e32 v2, s9
	v_add_co_u32_e32 v56, vcc, s8, v103
	s_mul_i32 s2, s13, 0x2a0
	s_mul_hi_u32 s3, s12, 0x2a0
	v_addc_co_u32_e32 v57, vcc, 0, v2, vcc
	s_add_i32 s2, s3, s2
	s_mul_i32 s3, s12, 0x2a0
	v_mov_b32_e32 v3, s2
	v_add_co_u32_e32 v2, vcc, s3, v0
	v_addc_co_u32_e32 v3, vcc, v1, v3, vcc
	v_mov_b32_e32 v5, s2
	v_add_co_u32_e32 v4, vcc, s3, v2
	v_addc_co_u32_e32 v5, vcc, v3, v5, vcc
	;; [unrolled: 3-line block ×3, first 2 shown]
	global_load_dwordx2 v[8:9], v[0:1], off
	global_load_dwordx2 v[10:11], v[2:3], off
	;; [unrolled: 1-line block ×4, first 2 shown]
	global_load_dwordx2 v[16:17], v103, s[8:9]
	global_load_dwordx2 v[18:19], v103, s[8:9] offset:672
	global_load_dwordx2 v[20:21], v103, s[8:9] offset:1344
	;; [unrolled: 1-line block ×3, first 2 shown]
	v_mov_b32_e32 v1, s2
	v_add_co_u32_e32 v0, vcc, s3, v6
	v_addc_co_u32_e32 v1, vcc, v7, v1, vcc
	global_load_dwordx2 v[2:3], v[0:1], off
	v_mov_b32_e32 v4, s2
	v_add_co_u32_e32 v0, vcc, s3, v0
	v_addc_co_u32_e32 v1, vcc, v1, v4, vcc
	global_load_dwordx2 v[4:5], v[0:1], off
	;; [unrolled: 4-line block ×3, first 2 shown]
	global_load_dwordx2 v[24:25], v103, s[8:9] offset:2688
	global_load_dwordx2 v[26:27], v103, s[8:9] offset:3360
	;; [unrolled: 1-line block ×3, first 2 shown]
	v_mov_b32_e32 v30, s2
	v_add_co_u32_e32 v0, vcc, s3, v0
	v_addc_co_u32_e32 v1, vcc, v1, v30, vcc
	s_movk_i32 s12, 0x1000
	v_add_co_u32_e32 v32, vcc, s12, v56
	v_addc_co_u32_e32 v33, vcc, 0, v57, vcc
	global_load_dwordx2 v[30:31], v[0:1], off
	v_mov_b32_e32 v34, s2
	v_add_co_u32_e32 v0, vcc, s3, v0
	v_addc_co_u32_e32 v1, vcc, v1, v34, vcc
	global_load_dwordx2 v[34:35], v[0:1], off
	v_mov_b32_e32 v36, s2
	;; [unrolled: 4-line block ×3, first 2 shown]
	v_add_co_u32_e32 v0, vcc, s3, v0
	v_addc_co_u32_e32 v1, vcc, v1, v38, vcc
	global_load_dwordx2 v[38:39], v[0:1], off
	global_load_dwordx2 v[40:41], v[32:33], off offset:608
	global_load_dwordx2 v[42:43], v[32:33], off offset:1280
	global_load_dwordx2 v[44:45], v[32:33], off offset:1952
	global_load_dwordx2 v[46:47], v[32:33], off offset:2624
	v_mov_b32_e32 v48, s2
	v_add_co_u32_e32 v0, vcc, s3, v0
	v_addc_co_u32_e32 v1, vcc, v1, v48, vcc
	global_load_dwordx2 v[48:49], v[0:1], off
	v_mov_b32_e32 v50, s2
	v_add_co_u32_e32 v0, vcc, s3, v0
	v_addc_co_u32_e32 v1, vcc, v1, v50, vcc
	global_load_dwordx2 v[50:51], v[0:1], off
	global_load_dwordx2 v[52:53], v[32:33], off offset:3296
	global_load_dwordx2 v[54:55], v[32:33], off offset:3968
	v_mov_b32_e32 v32, s2
	v_add_co_u32_e32 v0, vcc, s3, v0
	v_addc_co_u32_e32 v1, vcc, v1, v32, vcc
	s_movk_i32 s12, 0x2000
	v_add_co_u32_e32 v56, vcc, s12, v56
	v_addc_co_u32_e32 v57, vcc, 0, v57, vcc
	global_load_dwordx2 v[32:33], v[0:1], off
	v_mov_b32_e32 v58, s2
	v_add_co_u32_e32 v0, vcc, s3, v0
	v_addc_co_u32_e32 v1, vcc, v1, v58, vcc
	global_load_dwordx2 v[58:59], v[56:57], off offset:544
	global_load_dwordx2 v[60:61], v[0:1], off
	global_load_dwordx2 v[62:63], v[56:57], off offset:1216
	v_mov_b32_e32 v64, s2
	v_add_co_u32_e32 v0, vcc, s3, v0
	v_addc_co_u32_e32 v1, vcc, v1, v64, vcc
	global_load_dwordx2 v[64:65], v[0:1], off
	global_load_dwordx2 v[66:67], v[56:57], off offset:1888
	v_mov_b32_e32 v68, s2
	v_add_co_u32_e32 v0, vcc, s3, v0
	v_addc_co_u32_e32 v1, vcc, v1, v68, vcc
	global_load_dwordx2 v[68:69], v[0:1], off
	global_load_dwordx2 v[70:71], v[56:57], off offset:2560
	s_waitcnt vmcnt(29)
	v_mul_f32_e32 v0, v9, v17
	v_mul_f32_e32 v1, v8, v17
	v_fmac_f32_e32 v0, v8, v16
	v_fma_f32 v1, v9, v16, -v1
	s_waitcnt vmcnt(28)
	v_mul_f32_e32 v8, v11, v19
	v_mul_f32_e32 v9, v10, v19
	v_fmac_f32_e32 v8, v10, v18
	v_fma_f32 v9, v11, v18, -v9
	ds_write2_b64 v103, v[0:1], v[8:9] offset1:84
	s_waitcnt vmcnt(27)
	v_mul_f32_e32 v0, v13, v21
	v_mul_f32_e32 v1, v12, v21
	s_waitcnt vmcnt(26)
	v_mul_f32_e32 v8, v15, v23
	v_mul_f32_e32 v9, v14, v23
	v_fmac_f32_e32 v0, v12, v20
	v_fma_f32 v1, v13, v20, -v1
	v_fmac_f32_e32 v8, v14, v22
	v_fma_f32 v9, v15, v22, -v9
	ds_write2_b64 v103, v[0:1], v[8:9] offset0:168 offset1:252
	s_waitcnt vmcnt(22)
	v_mul_f32_e32 v0, v3, v25
	v_mul_f32_e32 v1, v2, v25
	v_fmac_f32_e32 v0, v2, v24
	v_fma_f32 v1, v3, v24, -v1
	s_waitcnt vmcnt(21)
	v_mul_f32_e32 v2, v5, v27
	v_mul_f32_e32 v3, v4, v27
	v_fmac_f32_e32 v2, v4, v26
	v_fma_f32 v3, v5, v26, -v3
	v_add_u32_e32 v4, 0x800, v103
	ds_write2_b64 v4, v[0:1], v[2:3] offset0:80 offset1:164
	s_waitcnt vmcnt(20)
	v_mul_f32_e32 v0, v7, v29
	v_mul_f32_e32 v1, v6, v29
	v_fmac_f32_e32 v0, v6, v28
	v_fma_f32 v1, v7, v28, -v1
	v_add_u32_e32 v4, 0xc00, v103
	s_waitcnt vmcnt(15)
	v_mul_f32_e32 v2, v31, v41
	v_mul_f32_e32 v3, v30, v41
	v_fmac_f32_e32 v2, v30, v40
	v_fma_f32 v3, v31, v40, -v3
	ds_write2_b64 v4, v[0:1], v[2:3] offset0:120 offset1:204
	s_waitcnt vmcnt(14)
	v_mul_f32_e32 v0, v35, v43
	v_mul_f32_e32 v1, v34, v43
	s_waitcnt vmcnt(13)
	v_mul_f32_e32 v2, v37, v45
	v_mul_f32_e32 v3, v36, v45
	v_fmac_f32_e32 v0, v34, v42
	v_fma_f32 v1, v35, v42, -v1
	v_fmac_f32_e32 v2, v36, v44
	v_fma_f32 v3, v37, v44, -v3
	v_add_u32_e32 v4, 0x1000, v103
	ds_write2_b64 v4, v[0:1], v[2:3] offset0:160 offset1:244
	s_waitcnt vmcnt(12)
	v_mul_f32_e32 v0, v39, v47
	v_mul_f32_e32 v1, v38, v47
	s_waitcnt vmcnt(9)
	v_mul_f32_e32 v2, v49, v53
	v_mul_f32_e32 v3, v48, v53
	v_fmac_f32_e32 v0, v38, v46
	v_fma_f32 v1, v39, v46, -v1
	v_fmac_f32_e32 v2, v48, v52
	v_fma_f32 v3, v49, v52, -v3
	v_add_u32_e32 v4, 0x1800, v103
	ds_write2_b64 v4, v[0:1], v[2:3] offset0:72 offset1:156
	s_waitcnt vmcnt(8)
	v_mul_f32_e32 v0, v51, v55
	v_mul_f32_e32 v1, v50, v55
	v_fmac_f32_e32 v0, v50, v54
	v_fma_f32 v1, v51, v54, -v1
	v_add_u32_e32 v4, 0x1c00, v103
	s_waitcnt vmcnt(6)
	v_mul_f32_e32 v2, v33, v59
	v_mul_f32_e32 v3, v32, v59
	v_fmac_f32_e32 v2, v32, v58
	v_fma_f32 v3, v33, v58, -v3
	ds_write2_b64 v4, v[0:1], v[2:3] offset0:112 offset1:196
	s_waitcnt vmcnt(4)
	v_mul_f32_e32 v0, v61, v63
	v_mul_f32_e32 v1, v60, v63
	v_fmac_f32_e32 v0, v60, v62
	s_waitcnt vmcnt(2)
	v_mul_f32_e32 v2, v65, v67
	v_mul_f32_e32 v3, v64, v67
	v_fma_f32 v1, v61, v62, -v1
	v_fmac_f32_e32 v2, v64, v66
	v_fma_f32 v3, v65, v66, -v3
	v_add_u32_e32 v4, 0x2000, v103
	ds_write2_b64 v4, v[0:1], v[2:3] offset0:152 offset1:236
	s_waitcnt vmcnt(0)
	v_mul_f32_e32 v0, v69, v71
	v_mul_f32_e32 v1, v68, v71
	v_fmac_f32_e32 v0, v68, v70
	v_fma_f32 v1, v69, v70, -v1
	ds_write_b64 v103, v[0:1] offset:10752
.LBB0_3:
	s_or_b64 exec, exec, s[6:7]
	s_load_dwordx2 s[2:3], s[4:5], 0x20
	s_load_dwordx2 s[12:13], s[4:5], 0x8
	v_mov_b32_e32 v4, 0
	v_mov_b32_e32 v5, 0
	s_waitcnt lgkmcnt(0)
	s_barrier
	s_waitcnt lgkmcnt(0)
                                        ; implicit-def: $vgpr20
                                        ; implicit-def: $vgpr32
                                        ; implicit-def: $vgpr36
                                        ; implicit-def: $vgpr30
                                        ; implicit-def: $vgpr26
                                        ; implicit-def: $vgpr18
                                        ; implicit-def: $vgpr14
                                        ; implicit-def: $vgpr10
	s_and_saveexec_b64 s[4:5], s[0:1]
	s_cbranch_execz .LBB0_5
; %bb.4:
	v_add_u32_e32 v0, 0x800, v103
	ds_read2_b64 v[4:7], v103 offset1:84
	ds_read2_b64 v[8:11], v103 offset0:168 offset1:252
	ds_read2_b64 v[12:15], v0 offset0:80 offset1:164
	v_add_u32_e32 v0, 0xc00, v103
	ds_read2_b64 v[16:19], v0 offset0:120 offset1:204
	v_add_u32_e32 v0, 0x1000, v103
	;; [unrolled: 2-line block ×5, first 2 shown]
	ds_read2_b64 v[32:35], v0 offset0:152 offset1:236
	ds_read_b64 v[36:37], v103 offset:10752
.LBB0_5:
	s_or_b64 exec, exec, s[4:5]
	s_waitcnt lgkmcnt(0)
	v_sub_f32_e32 v71, v7, v37
	v_mul_f32_e32 v40, 0xbeb8f4ab, v71
	v_sub_f32_e32 v89, v9, v35
	v_add_f32_e32 v50, v36, v6
	v_sub_f32_e32 v55, v6, v36
	v_mov_b32_e32 v0, v40
	v_mul_f32_e32 v44, 0xbf2c7751, v89
	v_add_f32_e32 v85, v37, v7
	s_mov_b32 s6, 0x3f6eb680
	v_mul_f32_e32 v41, 0xbeb8f4ab, v55
	v_fmac_f32_e32 v0, 0x3f6eb680, v50
	v_add_f32_e32 v57, v34, v8
	v_sub_f32_e32 v59, v8, v34
	v_mov_b32_e32 v2, v44
	v_add_f32_e32 v0, v0, v4
	v_fma_f32 v1, v85, s6, -v41
	s_mov_b32 s7, 0x3f3d2fb0
	v_add_f32_e32 v95, v35, v9
	v_mul_f32_e32 v45, 0xbf2c7751, v59
	v_fmac_f32_e32 v2, 0x3f3d2fb0, v57
	v_sub_f32_e32 v96, v11, v33
	v_add_f32_e32 v1, v1, v5
	v_add_f32_e32 v0, v2, v0
	v_fma_f32 v2, v95, s7, -v45
	v_mul_f32_e32 v47, 0xbf65296c, v96
	v_add_f32_e32 v1, v2, v1
	v_add_f32_e32 v61, v32, v10
	v_sub_f32_e32 v63, v10, v32
	v_mov_b32_e32 v2, v47
	s_mov_b32 s14, 0x3ee437d1
	v_add_f32_e32 v109, v33, v11
	v_mul_f32_e32 v147, 0xbf65296c, v63
	v_fmac_f32_e32 v2, 0x3ee437d1, v61
	v_sub_f32_e32 v110, v13, v23
	v_add_f32_e32 v0, v2, v0
	v_fma_f32 v2, v109, s14, -v147
	v_mul_f32_e32 v48, 0xbf7ee86f, v110
	v_add_f32_e32 v1, v2, v1
	v_add_f32_e32 v65, v22, v12
	v_sub_f32_e32 v67, v12, v22
	v_mov_b32_e32 v2, v48
	s_mov_b32 s15, 0x3dbcf732
	v_add_f32_e32 v120, v23, v13
	v_mul_f32_e32 v49, 0xbf7ee86f, v67
	v_fmac_f32_e32 v2, 0x3dbcf732, v65
	v_sub_f32_e32 v122, v15, v21
	v_add_f32_e32 v0, v2, v0
	v_fma_f32 v2, v120, s15, -v49
	v_mul_f32_e32 v51, 0xbf763a35, v122
	v_add_f32_e32 v1, v2, v1
	v_add_f32_e32 v68, v20, v14
	v_sub_f32_e32 v76, v14, v20
	v_mov_b32_e32 v2, v51
	s_mov_b32 s16, 0xbe8c1d8e
	v_add_f32_e32 v127, v21, v15
	v_mul_f32_e32 v54, 0xbf763a35, v76
	v_fmac_f32_e32 v2, 0xbe8c1d8e, v68
	v_sub_f32_e32 v128, v17, v31
	v_add_f32_e32 v0, v2, v0
	v_fma_f32 v2, v127, s16, -v54
	v_mul_f32_e32 v56, 0xbf4c4adb, v128
	v_add_f32_e32 v1, v2, v1
	v_add_f32_e32 v82, v30, v16
	v_sub_f32_e32 v91, v16, v30
	v_mov_b32_e32 v2, v56
	s_mov_b32 s18, 0xbf1a4643
	v_add_f32_e32 v121, v31, v17
	v_mul_f32_e32 v58, 0xbf4c4adb, v91
	v_fmac_f32_e32 v2, 0xbf1a4643, v82
	v_sub_f32_e32 v143, v19, v29
	v_add_f32_e32 v0, v2, v0
	v_fma_f32 v2, v121, s18, -v58
	v_mul_f32_e32 v60, 0xbf06c442, v143
	v_add_f32_e32 v1, v2, v1
	v_add_f32_e32 v94, v28, v18
	v_sub_f32_e32 v97, v18, v28
	v_mov_b32_e32 v2, v60
	s_mov_b32 s19, 0xbf59a7d5
	v_add_f32_e32 v123, v29, v19
	v_mul_f32_e32 v62, 0xbf06c442, v97
	v_fmac_f32_e32 v2, 0xbf59a7d5, v94
	v_sub_f32_e32 v159, v25, v27
	v_add_f32_e32 v0, v2, v0
	v_fma_f32 v2, v123, s19, -v62
	v_mul_f32_e32 v64, 0xbe3c28d5, v159
	v_add_f32_e32 v1, v2, v1
	v_add_f32_e32 v106, v26, v24
	v_mov_b32_e32 v2, v64
	v_sub_f32_e32 v111, v24, v26
	s_mov_b32 s17, 0xbf7ba420
	v_fmac_f32_e32 v2, 0xbf7ba420, v106
	v_add_f32_e32 v124, v27, v25
	v_mul_f32_e32 v66, 0xbe3c28d5, v111
	v_add_f32_e32 v73, v2, v0
	v_fma_f32 v0, v124, s17, -v66
	v_mul_f32_e32 v69, 0xbf2c7751, v71
	v_add_f32_e32 v74, v0, v1
	v_mov_b32_e32 v0, v69
	v_mul_f32_e32 v70, 0xbf7ee86f, v89
	v_fmac_f32_e32 v0, 0x3f3d2fb0, v50
	v_mov_b32_e32 v1, v70
	v_add_f32_e32 v0, v0, v4
	v_fmac_f32_e32 v1, 0x3dbcf732, v57
	v_mul_f32_e32 v79, 0xbf2c7751, v55
	v_add_f32_e32 v0, v1, v0
	v_fma_f32 v1, v85, s7, -v79
	v_mul_f32_e32 v80, 0xbf7ee86f, v59
	v_add_f32_e32 v1, v1, v5
	v_fma_f32 v2, v95, s15, -v80
	v_mul_f32_e32 v75, 0xbf4c4adb, v96
	v_add_f32_e32 v1, v2, v1
	v_mov_b32_e32 v2, v75
	v_fmac_f32_e32 v2, 0xbf1a4643, v61
	v_mul_f32_e32 v83, 0xbf4c4adb, v63
	v_add_f32_e32 v0, v2, v0
	v_fma_f32 v2, v109, s18, -v83
	v_mul_f32_e32 v77, 0xbe3c28d5, v110
	v_add_f32_e32 v1, v2, v1
	v_mov_b32_e32 v2, v77
	v_fmac_f32_e32 v2, 0xbf7ba420, v65
	;; [unrolled: 7-line block ×6, first 2 shown]
	v_mul_f32_e32 v93, 0x3eb8f4ab, v111
	v_mul_f32_e32 v98, 0xbf65296c, v71
	v_fma_f32 v3, v124, s6, -v93
	v_add_f32_e32 v2, v2, v0
	v_mov_b32_e32 v0, v98
	v_mul_f32_e32 v99, 0xbf4c4adb, v89
	v_add_f32_e32 v3, v3, v1
	v_fmac_f32_e32 v0, 0x3ee437d1, v50
	v_mov_b32_e32 v1, v99
	v_add_f32_e32 v0, v0, v4
	v_fmac_f32_e32 v1, 0xbf1a4643, v57
	v_mul_f32_e32 v100, 0x3e3c28d5, v96
	v_add_f32_e32 v0, v1, v0
	v_mov_b32_e32 v1, v100
	v_fmac_f32_e32 v1, 0xbf7ba420, v61
	v_mul_f32_e32 v101, 0x3f763a35, v110
	v_add_f32_e32 v0, v1, v0
	v_mov_b32_e32 v1, v101
	;; [unrolled: 4-line block ×6, first 2 shown]
	v_fmac_f32_e32 v1, 0xbf59a7d5, v106
	v_mul_f32_e32 v112, 0xbf65296c, v55
	v_add_f32_e32 v0, v1, v0
	v_fma_f32 v1, v85, s14, -v112
	v_mul_f32_e32 v113, 0xbf4c4adb, v59
	v_add_f32_e32 v1, v1, v5
	v_fma_f32 v38, v95, s18, -v113
	;; [unrolled: 3-line block ×8, first 2 shown]
	v_mul_f32_e32 v125, 0xbf7ee86f, v71
	v_add_f32_e32 v1, v38, v1
	v_mov_b32_e32 v38, v125
	v_mul_f32_e32 v126, 0xbe3c28d5, v89
	v_fmac_f32_e32 v38, 0x3dbcf732, v50
	v_mov_b32_e32 v39, v126
	v_add_f32_e32 v38, v38, v4
	v_fmac_f32_e32 v39, 0xbf7ba420, v57
	v_mul_f32_e32 v132, 0xbf7ee86f, v55
	v_add_f32_e32 v38, v39, v38
	v_fma_f32 v39, v85, s15, -v132
	v_mul_f32_e32 v133, 0xbe3c28d5, v59
	v_add_f32_e32 v39, v39, v5
	v_fma_f32 v42, v95, s17, -v133
	v_mul_f32_e32 v129, 0x3f763a35, v96
	v_add_f32_e32 v39, v42, v39
	v_mov_b32_e32 v42, v129
	v_fmac_f32_e32 v42, 0xbe8c1d8e, v61
	v_mul_f32_e32 v136, 0x3f763a35, v63
	v_add_f32_e32 v38, v42, v38
	v_fma_f32 v42, v109, s16, -v136
	v_mul_f32_e32 v130, 0x3eb8f4ab, v110
	v_add_f32_e32 v39, v42, v39
	v_mov_b32_e32 v42, v130
	v_fmac_f32_e32 v42, 0x3f6eb680, v65
	;; [unrolled: 7-line block ×6, first 2 shown]
	v_mul_f32_e32 v149, 0x3f2c7751, v111
	v_add_f32_e32 v52, v42, v38
	v_fma_f32 v38, v124, s7, -v149
	v_mul_f32_e32 v160, 0xbf763a35, v71
	v_add_f32_e32 v53, v38, v39
	v_mov_b32_e32 v38, v160
	v_mul_f32_e32 v161, 0x3f06c442, v89
	v_fmac_f32_e32 v38, 0xbe8c1d8e, v50
	v_mov_b32_e32 v39, v161
	v_add_f32_e32 v38, v38, v4
	v_fmac_f32_e32 v39, 0xbf59a7d5, v57
	v_mul_f32_e32 v165, 0xbf763a35, v55
	v_add_f32_e32 v38, v39, v38
	v_fma_f32 v39, v85, s16, -v165
	v_mul_f32_e32 v166, 0x3f06c442, v59
	v_add_f32_e32 v39, v39, v5
	v_fma_f32 v42, v95, s19, -v166
	v_mul_f32_e32 v162, 0x3f2c7751, v96
	v_add_f32_e32 v39, v42, v39
	v_mov_b32_e32 v42, v162
	v_fmac_f32_e32 v42, 0x3f3d2fb0, v61
	v_mul_f32_e32 v168, 0x3f2c7751, v63
	v_add_f32_e32 v38, v42, v38
	v_fma_f32 v42, v109, s7, -v168
	v_mul_f32_e32 v163, 0xbf65296c, v110
	v_add_f32_e32 v39, v42, v39
	v_mov_b32_e32 v42, v163
	v_fmac_f32_e32 v42, 0x3ee437d1, v65
	;; [unrolled: 7-line block ×6, first 2 shown]
	v_mul_f32_e32 v175, 0xbf4c4adb, v111
	v_add_f32_e32 v42, v42, v38
	v_fma_f32 v38, v124, s18, -v175
	v_add_f32_e32 v43, v38, v39
	s_barrier
	s_and_saveexec_b64 s[4:5], s[0:1]
	s_cbranch_execz .LBB0_7
; %bb.6:
	v_mul_f32_e32 v38, 0x3f6eb680, v50
	buffer_store_dword v38, off, s[24:27], 0 ; 4-byte Folded Spill
	v_mul_f32_e32 v38, 0x3f6eb680, v85
	buffer_store_dword v38, off, s[24:27], 0 offset:12 ; 4-byte Folded Spill
	v_mul_f32_e32 v38, 0x3f3d2fb0, v57
	buffer_store_dword v38, off, s[24:27], 0 offset:4 ; 4-byte Folded Spill
	;; [unrolled: 2-line block ×3, first 2 shown]
	v_mul_f32_e32 v38, 0x3dbcf732, v65
	v_mul_f32_e32 v217, 0xbf1a4643, v85
	buffer_store_dword v38, off, s[24:27], 0 offset:16 ; 4-byte Folded Spill
	v_mov_b32_e32 v38, v217
	v_mul_f32_e32 v218, 0xbe8c1d8e, v95
	v_fmac_f32_e32 v38, 0x3f4c4adb, v55
	v_mov_b32_e32 v39, v218
	v_add_f32_e32 v38, v38, v5
	v_fmac_f32_e32 v39, 0xbf763a35, v59
	v_mul_f32_e32 v219, 0x3f6eb680, v109
	v_add_f32_e32 v38, v39, v38
	v_mov_b32_e32 v39, v219
	v_fmac_f32_e32 v39, 0x3eb8f4ab, v63
	v_mul_f32_e32 v220, 0xbf59a7d5, v120
	v_add_f32_e32 v38, v39, v38
	v_mov_b32_e32 v39, v220
	v_fmac_f32_e32 v39, 0x3f06c442, v67
	v_mul_f32_e32 v221, 0x3dbcf732, v127
	v_add_f32_e32 v38, v39, v38
	v_mov_b32_e32 v39, v221
	v_fmac_f32_e32 v39, 0xbf7ee86f, v76
	v_mul_f32_e32 v222, 0x3f3d2fb0, v121
	v_add_f32_e32 v38, v39, v38
	v_mov_b32_e32 v39, v222
	v_fmac_f32_e32 v39, 0x3f2c7751, v91
	v_mul_f32_e32 v223, 0xbf7ba420, v123
	v_add_f32_e32 v38, v39, v38
	v_mov_b32_e32 v39, v223
	v_fmac_f32_e32 v39, 0x3e3c28d5, v97
	v_mul_f32_e32 v224, 0x3ee437d1, v124
	v_add_f32_e32 v38, v39, v38
	v_mov_b32_e32 v39, v224
	v_fmac_f32_e32 v39, 0xbf65296c, v111
	v_mul_f32_e32 v225, 0xbf4c4adb, v71
	v_add_f32_e32 v39, v39, v38
	v_mov_b32_e32 v38, v225
	v_mul_f32_e32 v226, 0x3f763a35, v89
	v_fmac_f32_e32 v38, 0xbf1a4643, v50
	v_mov_b32_e32 v176, v226
	v_add_f32_e32 v38, v38, v4
	v_fmac_f32_e32 v176, 0xbe8c1d8e, v57
	v_mul_f32_e32 v227, 0xbeb8f4ab, v96
	v_add_f32_e32 v38, v176, v38
	v_mov_b32_e32 v176, v227
	v_fmac_f32_e32 v176, 0x3f6eb680, v61
	v_mul_f32_e32 v228, 0xbf06c442, v110
	v_add_f32_e32 v38, v176, v38
	v_mov_b32_e32 v176, v228
	v_fmac_f32_e32 v176, 0xbf59a7d5, v65
	v_mul_f32_e32 v229, 0x3f7ee86f, v122
	v_add_f32_e32 v38, v176, v38
	v_mov_b32_e32 v176, v229
	v_fmac_f32_e32 v176, 0x3dbcf732, v68
	v_mul_f32_e32 v230, 0xbf2c7751, v128
	v_add_f32_e32 v38, v176, v38
	v_mov_b32_e32 v176, v230
	v_fmac_f32_e32 v176, 0x3f3d2fb0, v82
	v_mul_f32_e32 v231, 0xbe3c28d5, v143
	v_add_f32_e32 v38, v176, v38
	v_mov_b32_e32 v176, v231
	v_fmac_f32_e32 v176, 0xbf7ba420, v94
	v_mul_f32_e32 v232, 0x3f65296c, v159
	v_add_f32_e32 v38, v176, v38
	v_mov_b32_e32 v176, v232
	v_fmac_f32_e32 v176, 0x3ee437d1, v106
	v_mul_f32_e32 v233, 0xbf59a7d5, v85
	v_add_f32_e32 v38, v176, v38
	;; [unrolled: 32-line block ×3, first 2 shown]
	v_mov_b32_e32 v176, v241
	v_mul_f32_e32 v242, 0x3f65296c, v89
	v_fmac_f32_e32 v176, 0xbf59a7d5, v50
	v_mov_b32_e32 v178, v242
	v_add_f32_e32 v176, v176, v4
	v_fmac_f32_e32 v178, 0x3ee437d1, v57
	v_mul_f32_e32 v243, 0xbf7ee86f, v96
	v_add_f32_e32 v176, v178, v176
	v_mov_b32_e32 v178, v243
	v_fmac_f32_e32 v178, 0x3dbcf732, v61
	v_mul_f32_e32 v244, 0x3f4c4adb, v110
	v_add_f32_e32 v176, v178, v176
	v_mov_b32_e32 v178, v244
	;; [unrolled: 4-line block ×6, first 2 shown]
	v_mul_f32_e32 v158, 0x3f3d2fb0, v85
	v_mul_f32_e32 v181, 0x3ee437d1, v85
	;; [unrolled: 1-line block ×4, first 2 shown]
	v_fmac_f32_e32 v178, 0xbe8c1d8e, v106
	v_mul_f32_e32 v85, 0xbf7ba420, v85
	v_mul_f32_e32 v148, 0x3f3d2fb0, v95
	;; [unrolled: 1-line block ×6, first 2 shown]
	v_add_f32_e32 v176, v178, v176
	v_mov_b32_e32 v178, v85
	v_mul_f32_e32 v95, 0x3f6eb680, v95
	v_mov_b32_e32 v46, v179
	v_fmac_f32_e32 v178, 0x3e3c28d5, v55
	v_mov_b32_e32 v179, v95
	v_mul_f32_e32 v151, 0x3ee437d1, v109
	v_mul_f32_e32 v194, 0xbf1a4643, v109
	;; [unrolled: 1-line block ×5, first 2 shown]
	v_add_f32_e32 v178, v178, v5
	v_fmac_f32_e32 v179, 0xbeb8f4ab, v59
	v_mul_f32_e32 v109, 0xbf59a7d5, v109
	v_add_f32_e32 v178, v179, v178
	v_mov_b32_e32 v179, v109
	v_mul_f32_e32 v154, 0x3dbcf732, v120
	v_mul_f32_e32 v144, 0xbf7ba420, v120
	;; [unrolled: 1-line block ×5, first 2 shown]
	v_fmac_f32_e32 v179, 0x3f06c442, v63
	v_mul_f32_e32 v120, 0x3f3d2fb0, v120
	v_add_f32_e32 v178, v179, v178
	v_mov_b32_e32 v179, v120
	v_mul_f32_e32 v156, 0xbe8c1d8e, v127
	v_mul_f32_e32 v138, 0xbf59a7d5, v127
	v_mul_f32_e32 v211, 0x3f3d2fb0, v127
	v_mul_f32_e32 v213, 0x3ee437d1, v127
	v_mul_f32_e32 v215, 0xbf7ba420, v127
	v_fmac_f32_e32 v179, 0xbf2c7751, v67
	v_mul_f32_e32 v127, 0xbf1a4643, v127
	v_add_f32_e32 v178, v179, v178
	v_mov_b32_e32 v179, v127
	v_fmac_f32_e32 v179, 0x3f4c4adb, v76
	v_mul_f32_e32 v249, 0x3ee437d1, v121
	v_add_f32_e32 v178, v179, v178
	v_mov_b32_e32 v179, v249
	;; [unrolled: 4-line block ×4, first 2 shown]
	v_fmac_f32_e32 v217, 0xbf4c4adb, v55
	v_fmac_f32_e32 v179, 0xbf7ee86f, v111
	v_mul_f32_e32 v71, 0xbe3c28d5, v71
	v_fmac_f32_e32 v85, 0xbe3c28d5, v55
	v_fmac_f32_e32 v233, 0xbf06c442, v55
	v_add_f32_e32 v55, v217, v5
	v_fmac_f32_e32 v218, 0x3f763a35, v59
	v_add_f32_e32 v179, v179, v178
	v_mov_b32_e32 v178, v71
	v_mul_f32_e32 v89, 0x3eb8f4ab, v89
	v_add_f32_e32 v85, v85, v5
	v_fmac_f32_e32 v95, 0x3eb8f4ab, v59
	v_add_f32_e32 v55, v218, v55
	v_fmac_f32_e32 v219, 0xbeb8f4ab, v63
	v_fmac_f32_e32 v178, 0xbf7ba420, v50
	v_mov_b32_e32 v252, v89
	v_add_f32_e32 v85, v95, v85
	v_fmac_f32_e32 v109, 0xbf06c442, v63
	v_add_f32_e32 v55, v219, v55
	v_fmac_f32_e32 v220, 0xbf06c442, v67
	;; [unrolled: 2-line block ×3, first 2 shown]
	v_mul_f32_e32 v96, 0xbf06c442, v96
	v_add_f32_e32 v85, v109, v85
	v_fma_f32 v71, v50, s17, -v71
	v_add_f32_e32 v109, v233, v5
	v_fmac_f32_e32 v234, 0x3f65296c, v59
	v_add_f32_e32 v55, v220, v55
	v_fmac_f32_e32 v221, 0x3f7ee86f, v76
	v_add_f32_e32 v178, v252, v178
	v_mov_b32_e32 v252, v96
	v_add_f32_e32 v71, v71, v4
	v_fma_f32 v89, v57, s6, -v89
	v_add_f32_e32 v109, v234, v109
	v_fmac_f32_e32 v235, 0xbf7ee86f, v63
	v_add_f32_e32 v55, v221, v55
	v_fmac_f32_e32 v222, 0xbf2c7751, v91
	v_fmac_f32_e32 v252, 0xbf59a7d5, v61
	v_mul_f32_e32 v110, 0x3f2c7751, v110
	v_fmac_f32_e32 v120, 0x3f2c7751, v67
	v_add_f32_e32 v71, v89, v71
	v_fma_f32 v95, v61, s19, -v96
	v_add_f32_e32 v109, v235, v109
	v_fmac_f32_e32 v236, 0x3f4c4adb, v67
	v_add_f32_e32 v55, v222, v55
	v_fmac_f32_e32 v223, 0xbe3c28d5, v97
	v_mul_f32_e32 v152, 0x3f3d2fb0, v50
	v_mul_f32_e32 v180, 0x3ee437d1, v50
	;; [unrolled: 1-line block ×4, first 2 shown]
	v_add_f32_e32 v178, v252, v178
	v_mov_b32_e32 v252, v110
	v_add_f32_e32 v85, v120, v85
	v_fmac_f32_e32 v127, 0xbf4c4adb, v76
	v_add_f32_e32 v71, v95, v71
	v_fma_f32 v95, v65, s7, -v110
	v_add_f32_e32 v109, v236, v109
	v_fmac_f32_e32 v237, 0xbeb8f4ab, v76
	v_fma_f32 v110, v50, s19, -v241
	v_add_f32_e32 v55, v223, v55
	v_fmac_f32_e32 v224, 0x3f65296c, v111
	v_fma_f32 v50, v50, s18, -v225
	v_mul_f32_e32 v216, 0xbf1a4643, v121
	v_mul_f32_e32 v253, 0xbe8c1d8e, v121
	;; [unrolled: 1-line block ×3, first 2 shown]
	v_add_f32_e32 v85, v127, v85
	v_mul_f32_e32 v127, 0xbf59a7d5, v121
	v_mul_f32_e32 v200, 0x3dbcf732, v121
	v_add_f32_e32 v109, v237, v109
	v_fmac_f32_e32 v238, 0xbe3c28d5, v91
	v_add_f32_e32 v110, v110, v4
	v_fma_f32 v120, v57, s14, -v242
	v_add_f32_e32 v121, v224, v55
	v_add_f32_e32 v50, v50, v4
	v_fma_f32 v55, v57, s16, -v226
	v_add_f32_e32 v109, v238, v109
	v_fmac_f32_e32 v239, 0x3f2c7751, v97
	v_add_f32_e32 v110, v120, v110
	v_fma_f32 v120, v61, s15, -v243
	v_add_f32_e32 v50, v55, v50
	v_fma_f32 v55, v61, s6, -v227
	v_add_f32_e32 v109, v239, v109
	v_add_f32_e32 v110, v120, v110
	v_fma_f32 v120, v65, s18, -v244
	v_fmac_f32_e32 v240, 0xbf763a35, v111
	v_add_f32_e32 v50, v55, v50
	v_fma_f32 v55, v65, s19, -v228
	v_add_f32_e32 v120, v120, v110
	v_add_f32_e32 v110, v240, v109
	v_fma_f32 v109, v68, s6, -v245
	v_add_f32_e32 v50, v55, v50
	v_fma_f32 v55, v68, s15, -v229
	v_add_f32_e32 v109, v109, v120
	v_fma_f32 v120, v82, s17, -v246
	v_add_f32_e32 v50, v55, v50
	v_fma_f32 v55, v82, s7, -v230
	v_add_f32_e32 v109, v120, v109
	v_fma_f32 v120, v94, s7, -v247
	v_add_f32_e32 v50, v55, v50
	v_fma_f32 v55, v94, s17, -v231
	v_fmac_f32_e32 v252, 0x3f3d2fb0, v65
	v_mul_f32_e32 v122, 0xbf4c4adb, v122
	v_add_f32_e32 v109, v120, v109
	v_fma_f32 v120, v106, s16, -v248
	v_add_f32_e32 v50, v55, v50
	v_fma_f32 v55, v106, s14, -v232
	v_add_f32_e32 v178, v252, v178
	v_mov_b32_e32 v252, v122
	v_add_f32_e32 v109, v120, v109
	v_add_f32_e32 v120, v55, v50
	;; [unrolled: 1-line block ×3, first 2 shown]
	v_fmac_f32_e32 v252, 0xbf1a4643, v68
	v_mul_f32_e32 v128, 0x3f65296c, v128
	v_fmac_f32_e32 v249, 0x3f65296c, v91
	v_add_f32_e32 v71, v95, v71
	v_fma_f32 v95, v68, s18, -v122
	v_add_f32_e32 v50, v50, v5
	v_add_f32_e32 v55, v166, v192
	v_add_f32_e32 v178, v252, v178
	v_mov_b32_e32 v252, v128
	v_mul_f32_e32 v143, 0xbf763a35, v143
	v_add_f32_e32 v85, v249, v85
	v_fmac_f32_e32 v250, 0xbf763a35, v97
	v_add_f32_e32 v71, v95, v71
	v_fma_f32 v95, v82, s14, -v128
	v_add_f32_e32 v50, v55, v50
	v_add_f32_e32 v55, v168, v199
	v_fmac_f32_e32 v252, 0x3ee437d1, v82
	v_mul_f32_e32 v159, 0x3f7ee86f, v159
	v_add_f32_e32 v85, v250, v85
	v_add_f32_e32 v71, v95, v71
	v_fma_f32 v95, v94, s16, -v143
	v_fmac_f32_e32 v251, 0x3f7ee86f, v111
	v_add_f32_e32 v50, v55, v50
	v_add_f32_e32 v55, v170, v207
	;; [unrolled: 1-line block ×3, first 2 shown]
	v_mov_b32_e32 v252, v143
	v_add_f32_e32 v71, v95, v71
	v_add_f32_e32 v96, v251, v85
	v_fma_f32 v85, v106, s15, -v159
	v_add_f32_e32 v50, v55, v50
	v_add_f32_e32 v55, v172, v215
	v_fmac_f32_e32 v252, 0xbe8c1d8e, v94
	v_mul_f32_e32 v89, 0xbf59a7d5, v123
	v_mul_f32_e32 v208, 0x3ee437d1, v123
	;; [unrolled: 1-line block ×3, first 2 shown]
	v_add_f32_e32 v95, v85, v71
	v_mul_f32_e32 v71, 0xbf1a4643, v123
	v_mul_f32_e32 v123, 0x3f6eb680, v123
	v_add_f32_e32 v50, v55, v50
	v_add_f32_e32 v55, v173, v200
	;; [unrolled: 1-line block ×3, first 2 shown]
	v_mov_b32_e32 v252, v159
	v_mul_f32_e32 v159, 0xbf7ba420, v124
	v_mul_f32_e32 v234, 0x3f6eb680, v124
	;; [unrolled: 1-line block ×5, first 2 shown]
	v_add_f32_e32 v50, v55, v50
	v_add_f32_e32 v55, v174, v123
	;; [unrolled: 1-line block ×4, first 2 shown]
	v_mul_f32_e32 v191, 0xbf59a7d5, v57
	v_mul_f32_e32 v150, 0xbe8c1d8e, v68
	;; [unrolled: 1-line block ×6, first 2 shown]
	v_add_f32_e32 v68, v55, v50
	v_sub_f32_e32 v50, v184, v160
	v_mul_f32_e32 v198, 0x3f3d2fb0, v61
	v_add_f32_e32 v50, v50, v4
	v_sub_f32_e32 v55, v191, v161
	v_mul_f32_e32 v206, 0x3ee437d1, v65
	v_add_f32_e32 v50, v55, v50
	v_sub_f32_e32 v55, v198, v162
	v_add_f32_e32 v50, v55, v50
	v_sub_f32_e32 v55, v206, v163
	v_mul_f32_e32 v249, 0x3dbcf732, v82
	v_add_f32_e32 v50, v55, v50
	v_sub_f32_e32 v55, v214, v164
	v_mul_f32_e32 v85, 0x3f6eb680, v94
	;; [unrolled: 3-line block ×3, first 2 shown]
	v_add_f32_e32 v50, v55, v50
	v_sub_f32_e32 v55, v85, v169
	v_add_f32_e32 v50, v55, v50
	v_sub_f32_e32 v55, v239, v171
	v_add_f32_e32 v67, v55, v50
	v_add_f32_e32 v50, v132, v183
	v_add_f32_e32 v50, v50, v5
	v_add_f32_e32 v55, v133, v190
	v_add_f32_e32 v50, v55, v50
	v_add_f32_e32 v55, v136, v197
	v_add_f32_e32 v50, v55, v50
	v_add_f32_e32 v55, v139, v205
	v_add_f32_e32 v50, v55, v50
	v_add_f32_e32 v55, v141, v213
	v_add_f32_e32 v50, v55, v50
	v_add_f32_e32 v55, v145, v127
	v_add_f32_e32 v50, v55, v50
	v_add_f32_e32 v55, v146, v71
	v_add_f32_e32 v50, v55, v50
	v_add_f32_e32 v55, v149, v238
	v_mul_f32_e32 v189, 0xbf7ba420, v57
	v_add_f32_e32 v123, v55, v50
	v_sub_f32_e32 v50, v182, v125
	v_mul_f32_e32 v196, 0xbe8c1d8e, v61
	v_add_f32_e32 v50, v50, v4
	v_sub_f32_e32 v55, v189, v126
	;; [unrolled: 3-line block ×3, first 2 shown]
	v_add_f32_e32 v50, v55, v50
	v_sub_f32_e32 v55, v204, v130
	v_mul_f32_e32 v72, 0xbf59a7d5, v82
	v_add_f32_e32 v50, v55, v50
	v_sub_f32_e32 v55, v212, v131
	v_mul_f32_e32 v122, 0xbf1a4643, v94
	v_add_f32_e32 v50, v55, v50
	v_sub_f32_e32 v55, v72, v134
	v_mul_f32_e32 v237, 0x3f3d2fb0, v106
	v_add_f32_e32 v50, v55, v50
	v_sub_f32_e32 v55, v122, v137
	v_add_f32_e32 v50, v55, v50
	v_sub_f32_e32 v55, v237, v140
	v_add_f32_e32 v122, v55, v50
	v_add_f32_e32 v50, v112, v181
	;; [unrolled: 1-line block ×16, first 2 shown]
	v_mul_f32_e32 v142, 0xbf1a4643, v57
	v_fmac_f32_e32 v252, 0x3dbcf732, v106
	v_mul_f32_e32 v143, 0xbf7ba420, v106
	v_mul_f32_e32 v233, 0x3f6eb680, v106
	;; [unrolled: 1-line block ×3, first 2 shown]
	v_add_f32_e32 v106, v55, v50
	v_sub_f32_e32 v50, v180, v98
	v_mul_f32_e32 v135, 0xbf7ba420, v61
	v_add_f32_e32 v50, v50, v4
	v_sub_f32_e32 v55, v142, v99
	v_mul_f32_e32 v202, 0xbe8c1d8e, v65
	v_add_f32_e32 v50, v55, v50
	v_sub_f32_e32 v55, v135, v100
	v_add_f32_e32 v50, v55, v50
	v_sub_f32_e32 v55, v202, v101
	v_mul_f32_e32 v254, 0x3f6eb680, v82
	v_add_f32_e32 v50, v55, v50
	v_sub_f32_e32 v55, v210, v102
	v_mul_f32_e32 v193, 0x3dbcf732, v94
	v_add_f32_e32 v50, v55, v50
	v_sub_f32_e32 v55, v254, v105
	v_add_f32_e32 v50, v55, v50
	v_sub_f32_e32 v55, v193, v107
	;; [unrolled: 2-line block ×3, first 2 shown]
	v_add_f32_e32 v105, v55, v50
	v_add_f32_e32 v50, v79, v158
	;; [unrolled: 1-line block ×16, first 2 shown]
	v_mul_f32_e32 v155, 0x3dbcf732, v57
	v_add_f32_e32 v71, v55, v50
	v_sub_f32_e32 v50, v152, v69
	v_mul_f32_e32 v157, 0xbf1a4643, v61
	v_add_f32_e32 v50, v50, v4
	v_sub_f32_e32 v55, v155, v70
	;; [unrolled: 3-line block ×3, first 2 shown]
	v_add_f32_e32 v50, v55, v50
	v_sub_f32_e32 v55, v201, v77
	v_add_f32_e32 v178, v252, v178
	v_mul_f32_e32 v252, 0xbe8c1d8e, v82
	v_add_f32_e32 v50, v55, v50
	v_sub_f32_e32 v55, v209, v78
	v_mul_f32_e32 v186, 0x3ee437d1, v94
	v_add_f32_e32 v50, v55, v50
	v_sub_f32_e32 v55, v252, v81
	v_add_f32_e32 v50, v55, v50
	v_sub_f32_e32 v55, v186, v84
	;; [unrolled: 2-line block ×3, first 2 shown]
	v_add_f32_e32 v70, v55, v50
	buffer_load_dword v50, off, s[24:27], 0 offset:12 ; 4-byte Folded Reload
	v_add_f32_e32 v45, v45, v148
	v_mul_f32_e32 v153, 0xbf1a4643, v82
	v_mul_f32_e32 v250, 0xbf59a7d5, v94
	s_waitcnt vmcnt(0)
	v_add_f32_e32 v41, v41, v50
	v_add_f32_e32 v41, v41, v5
	;; [unrolled: 1-line block ×15, first 2 shown]
	buffer_load_dword v45, off, s[24:27], 0 ; 4-byte Folded Reload
	v_add_f32_e32 v5, v7, v5
	v_add_f32_e32 v5, v9, v5
	;; [unrolled: 1-line block ×16, first 2 shown]
	s_waitcnt vmcnt(0)
	v_sub_f32_e32 v40, v45, v40
	buffer_load_dword v45, off, s[24:27], 0 offset:4 ; 4-byte Folded Reload
	v_add_f32_e32 v40, v40, v4
	v_add_f32_e32 v4, v6, v4
	;; [unrolled: 1-line block ×16, first 2 shown]
	v_mul_lo_u16_e32 v6, 17, v104
	v_add_f32_e32 v4, v36, v4
	v_lshlrev_b32_e32 v6, 3, v6
	s_waitcnt vmcnt(0)
	v_sub_f32_e32 v44, v45, v44
	v_add_f32_e32 v40, v44, v40
	buffer_load_dword v44, off, s[24:27], 0 offset:8 ; 4-byte Folded Reload
	s_waitcnt vmcnt(0)
	v_sub_f32_e32 v44, v44, v47
	v_add_f32_e32 v40, v44, v40
	buffer_load_dword v44, off, s[24:27], 0 offset:16 ; 4-byte Folded Reload
	s_waitcnt vmcnt(0)
	v_sub_f32_e32 v44, v44, v48
	v_add_f32_e32 v40, v44, v40
	v_sub_f32_e32 v44, v150, v51
	v_add_f32_e32 v40, v44, v40
	;; [unrolled: 2-line block ×5, first 2 shown]
	ds_write2_b64 v6, v[4:5], v[40:41] offset1:1
	ds_write2_b64 v6, v[70:71], v[105:106] offset0:2 offset1:3
	ds_write2_b64 v6, v[122:123], v[67:68] offset0:4 offset1:5
	ds_write2_b64 v6, v[120:121], v[109:110] offset0:6 offset1:7
	ds_write2_b64 v6, v[95:96], v[178:179] offset0:8 offset1:9
	v_mov_b32_e32 v179, v46
	ds_write2_b64 v6, v[176:177], v[38:39] offset0:10 offset1:11
	ds_write2_b64 v6, v[42:43], v[52:53] offset0:12 offset1:13
	ds_write2_b64 v6, v[0:1], v[2:3] offset0:14 offset1:15
	ds_write_b64 v6, v[73:74] offset:128
.LBB0_7:
	s_or_b64 exec, exec, s[4:5]
	s_load_dwordx4 s[4:7], s[2:3], 0x0
	s_movk_i32 s2, 0x165
	s_movk_i32 s16, 0xf1
	v_add_co_u32_e32 v6, vcc, s2, v104
	s_movk_i32 s2, 0x1dc
	v_mul_lo_u16_sdwa v4, v104, s16 dst_sel:DWORD dst_unused:UNUSED_PAD src0_sel:BYTE_0 src1_sel:DWORD
	v_add_co_u32_e32 v5, vcc, 0xee, v104
	v_add_co_u32_e32 v7, vcc, s2, v104
	v_lshrrev_b16_e32 v36, 12, v4
	s_mov_b32 s2, 0xf0f1
	v_mul_lo_u16_e32 v4, 17, v36
	v_mul_u32_u24_sdwa v10, v5, s2 dst_sel:DWORD dst_unused:UNUSED_PAD src0_sel:WORD_0 src1_sel:DWORD
	v_sub_u16_e32 v4, v104, v4
	v_add_u16_e32 v56, 0x77, v104
	v_lshrrev_b32_e32 v44, 20, v10
	v_and_b32_e32 v37, 0xff, v4
	v_mul_lo_u16_sdwa v4, v56, s16 dst_sel:DWORD dst_unused:UNUSED_PAD src0_sel:BYTE_0 src1_sel:DWORD
	v_mul_lo_u16_e32 v10, 17, v44
	v_lshrrev_b16_e32 v38, 12, v4
	v_sub_u16_e32 v45, v5, v10
	v_mul_u32_u24_sdwa v10, v6, s2 dst_sel:DWORD dst_unused:UNUSED_PAD src0_sel:WORD_0 src1_sel:DWORD
	v_mul_lo_u16_e32 v9, 17, v38
	v_lshrrev_b32_e32 v46, 20, v10
	v_sub_u16_e32 v9, v56, v9
	v_mul_lo_u16_e32 v10, 17, v46
	v_lshlrev_b32_e32 v8, 3, v37
	v_and_b32_e32 v39, 0xff, v9
	v_lshlrev_b32_e32 v5, 3, v45
	v_sub_u16_e32 v47, v6, v10
	s_waitcnt lgkmcnt(0)
	s_barrier
	v_lshlrev_b32_e32 v9, 3, v39
	v_lshlrev_b32_e32 v6, 3, v47
	global_load_dwordx2 v[83:84], v8, s[12:13]
	global_load_dwordx2 v[79:80], v9, s[12:13]
	;; [unrolled: 1-line block ×4, first 2 shown]
	v_mul_u32_u24_sdwa v5, v7, s2 dst_sel:DWORD dst_unused:UNUSED_PAD src0_sel:WORD_0 src1_sel:DWORD
	v_lshrrev_b32_e32 v48, 20, v5
	v_mul_lo_u16_e32 v5, 17, v48
	v_sub_u16_e32 v49, v7, v5
	v_lshlrev_b32_e32 v5, 3, v49
	s_movk_i32 s3, 0x253
	global_load_dwordx2 v[81:82], v5, s[12:13]
	v_add_co_u32_e32 v5, vcc, s3, v104
	v_mul_u32_u24_sdwa v6, v5, s2 dst_sel:DWORD dst_unused:UNUSED_PAD src0_sel:WORD_0 src1_sel:DWORD
	v_lshrrev_b32_e32 v50, 20, v6
	v_mul_lo_u16_e32 v6, 17, v50
	v_sub_u16_e32 v51, v5, v6
	v_lshlrev_b32_e32 v5, 3, v51
	global_load_dwordx2 v[85:86], v5, s[12:13]
	v_mov_b32_e32 v5, 3
	v_lshlrev_b32_sdwa v105, v5, v104 dst_sel:DWORD dst_unused:UNUSED_PAD src0_sel:DWORD src1_sel:WORD_0
	v_add_u32_e32 v10, 0x1400, v105
	v_add_u32_e32 v14, 0x400, v105
	;; [unrolled: 1-line block ×3, first 2 shown]
	ds_read2_b64 v[6:9], v105 offset1:119
	v_add_u32_e32 v5, 0x1c00, v105
	v_add_u32_e32 v54, 0xc00, v105
	ds_read2_b64 v[10:13], v10 offset0:74 offset1:193
	ds_read2_b64 v[14:17], v14 offset0:110 offset1:229
	;; [unrolled: 1-line block ×5, first 2 shown]
	s_waitcnt vmcnt(0) lgkmcnt(0)
	s_barrier
	s_movk_i32 s2, 0x55
	v_cmp_gt_u16_e64 s[2:3], s2, v104
	v_mul_f32_e32 v31, v10, v84
	v_mul_f32_e32 v30, v11, v84
	v_fmac_f32_e32 v31, v11, v83
	v_mul_f32_e32 v40, v21, v76
	v_mul_f32_e32 v41, v20, v76
	v_fma_f32 v20, v20, v75, -v40
	v_fma_f32 v10, v10, v83, -v30
	v_fmac_f32_e32 v41, v21, v75
	v_sub_f32_e32 v10, v6, v10
	v_fma_f32 v6, v6, 2.0, -v10
	v_mul_f32_e32 v55, v27, v82
	v_mul_f32_e32 v57, v26, v82
	v_fma_f32 v21, v26, v81, -v55
	v_fmac_f32_e32 v57, v27, v81
	v_mul_f32_e32 v32, v13, v80
	v_mul_f32_e32 v33, v12, v80
	;; [unrolled: 1-line block ×5, first 2 shown]
	v_fma_f32 v26, v28, v85, -v11
	v_mul_f32_e32 v27, v28, v86
	v_sub_f32_e32 v28, v16, v20
	v_mul_lo_u16_e32 v20, 34, v36
	v_sub_f32_e32 v11, v7, v31
	v_and_b32_e32 v20, 0xfe, v20
	v_fma_f32 v7, v7, 2.0, -v11
	v_add_lshl_u32 v108, v20, v37, 3
	ds_write2_b64 v108, v[6:7], v[10:11] offset1:17
	v_mul_u32_u24_e32 v6, 34, v38
	v_add_lshl_u32 v109, v6, v39, 3
	v_mad_legacy_u16 v6, v44, 34, v45
	v_lshlrev_b32_e32 v110, 3, v6
	v_mad_legacy_u16 v6, v46, 34, v47
	v_fma_f32 v12, v12, v79, -v32
	v_fmac_f32_e32 v33, v13, v79
	v_fma_f32 v18, v18, v77, -v34
	v_fmac_f32_e32 v35, v19, v77
	v_fmac_f32_e32 v27, v29, v85
	v_lshlrev_b32_e32 v111, 3, v6
	v_mad_legacy_u16 v6, v48, 34, v49
	v_sub_f32_e32 v12, v8, v12
	v_sub_f32_e32 v13, v9, v33
	;; [unrolled: 1-line block ×9, first 2 shown]
	v_lshlrev_b32_e32 v112, 3, v6
	v_mad_legacy_u16 v6, v50, 34, v51
	v_fma_f32 v8, v8, 2.0, -v12
	v_fma_f32 v9, v9, 2.0, -v13
	;; [unrolled: 1-line block ×10, first 2 shown]
	v_lshlrev_b32_e32 v113, 3, v6
	v_add_u32_e32 v6, 0x1800, v105
	ds_write2_b64 v109, v[8:9], v[12:13] offset1:17
	ds_write2_b64 v110, v[14:15], v[18:19] offset1:17
	;; [unrolled: 1-line block ×5, first 2 shown]
	s_waitcnt lgkmcnt(0)
	s_barrier
	ds_read2_b64 v[36:39], v105 offset1:204
	ds_read2_b64 v[44:47], v54 offset0:24 offset1:228
	ds_read2_b64 v[48:51], v6 offset0:48 offset1:252
	ds_read_b64 v[54:55], v105 offset:9792
	s_and_saveexec_b64 s[14:15], s[2:3]
	s_cbranch_execz .LBB0_9
; %bb.8:
	v_add_u32_e32 v6, 0x300, v105
	ds_read2_b64 v[28:31], v6 offset0:23 offset1:227
	v_add_u32_e32 v6, 0x1000, v105
	ds_read2_b64 v[40:43], v5 offset0:39 offset1:243
	ds_read2_b64 v[32:35], v6 offset0:15 offset1:219
	ds_read_b64 v[52:53], v105 offset:10744
.LBB0_9:
	s_or_b64 exec, exec, s[14:15]
	v_lshrrev_b16_e32 v106, 13, v4
	v_mul_lo_u16_e32 v4, 34, v106
	v_sub_u16_e32 v4, v56, v4
	v_and_b32_e32 v107, 0xff, v4
	v_mul_lo_u16_sdwa v4, v104, s16 dst_sel:DWORD dst_unused:UNUSED_PAD src0_sel:BYTE_0 src1_sel:DWORD
	v_lshrrev_b16_e32 v69, 13, v4
	v_mul_lo_u16_e32 v12, 34, v69
	v_sub_u16_e32 v12, v104, v12
	v_and_b32_e32 v70, 0xff, v12
	v_mad_u64_u32 v[57:58], s[14:15], v107, 48, s[12:13]
	v_mad_u64_u32 v[59:60], s[14:15], v70, 48, s[12:13]
	global_load_dwordx4 v[4:7], v[57:58], off offset:168
	global_load_dwordx4 v[8:11], v[57:58], off offset:152
	global_load_dwordx4 v[24:27], v[59:60], off offset:136
	global_load_dwordx4 v[20:23], v[59:60], off offset:152
	global_load_dwordx4 v[16:19], v[59:60], off offset:168
	global_load_dwordx4 v[12:15], v[57:58], off offset:136
	s_mov_b32 s15, 0x3f3bfb3b
	s_mov_b32 s14, 0x3f5ff5aa
	v_mul_u32_u24_e32 v69, 0xee, v69
	v_add_lshl_u32 v114, v69, v70, 3
	s_waitcnt vmcnt(0) lgkmcnt(0)
	s_barrier
	v_mul_f32_e32 v59, v43, v5
	v_mul_f32_e32 v61, v39, v25
	;; [unrolled: 1-line block ×16, first 2 shown]
	v_fma_f32 v38, v38, v24, -v61
	v_fmac_f32_e32 v62, v39, v24
	v_fma_f32 v39, v44, v26, -v63
	v_fmac_f32_e32 v64, v45, v26
	v_fma_f32 v44, v50, v16, -v89
	v_fma_f32 v45, v54, v18, -v91
	v_mul_f32_e32 v57, v35, v9
	v_mul_f32_e32 v72, v40, v11
	;; [unrolled: 1-line block ×6, first 2 shown]
	v_fmac_f32_e32 v71, v35, v8
	v_fma_f32 v35, v40, v10, -v58
	v_fma_f32 v40, v42, v4, -v59
	v_fmac_f32_e32 v87, v43, v4
	v_fma_f32 v42, v46, v20, -v65
	v_fma_f32 v43, v48, v22, -v67
	v_fmac_f32_e32 v90, v51, v16
	v_fmac_f32_e32 v92, v55, v18
	;; [unrolled: 1-line block ×3, first 2 shown]
	v_fma_f32 v31, v32, v14, -v95
	v_add_f32_e32 v32, v38, v45
	v_add_f32_e32 v46, v39, v44
	v_mul_f32_e32 v60, v53, v7
	v_fmac_f32_e32 v66, v47, v20
	v_fmac_f32_e32 v68, v49, v22
	;; [unrolled: 1-line block ×3, first 2 shown]
	v_add_f32_e32 v33, v62, v92
	v_add_f32_e32 v47, v64, v90
	v_sub_f32_e32 v39, v39, v44
	v_add_f32_e32 v48, v42, v43
	v_sub_f32_e32 v42, v43, v42
	v_add_f32_e32 v50, v46, v32
	v_mul_f32_e32 v88, v52, v7
	v_fmac_f32_e32 v72, v41, v10
	v_fma_f32 v41, v52, v6, -v60
	v_sub_f32_e32 v38, v38, v45
	v_sub_f32_e32 v44, v64, v90
	v_add_f32_e32 v49, v66, v68
	v_sub_f32_e32 v43, v68, v66
	v_add_f32_e32 v51, v47, v33
	v_sub_f32_e32 v52, v46, v32
	v_sub_f32_e32 v32, v32, v48
	;; [unrolled: 1-line block ×3, first 2 shown]
	v_add_f32_e32 v54, v42, v39
	v_add_f32_e32 v48, v48, v50
	v_fma_f32 v34, v34, v8, -v57
	v_fmac_f32_e32 v88, v53, v6
	v_sub_f32_e32 v45, v62, v92
	v_sub_f32_e32 v53, v47, v33
	;; [unrolled: 1-line block ×4, first 2 shown]
	v_add_f32_e32 v55, v43, v44
	v_sub_f32_e32 v57, v42, v39
	v_sub_f32_e32 v42, v38, v42
	;; [unrolled: 1-line block ×3, first 2 shown]
	v_add_f32_e32 v49, v49, v51
	v_add_f32_e32 v38, v54, v38
	v_add_f32_e32 v54, v36, v48
	v_sub_f32_e32 v58, v43, v44
	v_sub_f32_e32 v43, v45, v43
	;; [unrolled: 1-line block ×3, first 2 shown]
	v_add_f32_e32 v45, v55, v45
	v_add_f32_e32 v55, v37, v49
	v_mul_f32_e32 v36, 0x3d64c772, v46
	v_mul_f32_e32 v37, 0x3d64c772, v47
	v_mov_b32_e32 v59, v54
	v_mul_f32_e32 v32, 0x3f4a47b2, v32
	v_mul_f32_e32 v50, 0xbf08b237, v57
	;; [unrolled: 1-line block ×3, first 2 shown]
	v_fmac_f32_e32 v59, 0xbf955555, v48
	v_mov_b32_e32 v48, v55
	v_fma_f32 v36, v52, s15, -v36
	v_fma_f32 v37, v53, s15, -v37
	s_mov_b32 s15, 0xbf3bfb3b
	v_mul_f32_e32 v33, 0x3f4a47b2, v33
	v_mul_f32_e32 v57, 0x3f5ff5aa, v39
	v_mul_f32_e32 v58, 0x3f5ff5aa, v44
	v_fmac_f32_e32 v48, 0xbf955555, v49
	v_fma_f32 v49, v52, s15, -v32
	v_fmac_f32_e32 v32, 0x3d64c772, v46
	v_fma_f32 v39, v39, s14, -v50
	v_fma_f32 v44, v44, s14, -v51
	v_fmac_f32_e32 v51, 0x3eae86e6, v43
	s_mov_b32 s14, 0xbeae86e6
	v_fma_f32 v30, v30, v12, -v93
	v_fma_f32 v46, v53, s15, -v33
	v_fmac_f32_e32 v33, 0x3d64c772, v47
	v_fmac_f32_e32 v50, 0x3eae86e6, v42
	v_fma_f32 v42, v42, s14, -v57
	v_add_f32_e32 v32, v32, v59
	v_fmac_f32_e32 v51, 0x3ee1c552, v45
	v_fma_f32 v43, v43, s14, -v58
	v_add_f32_e32 v33, v33, v48
	v_add_f32_e32 v36, v36, v59
	;; [unrolled: 1-line block ×4, first 2 shown]
	v_fmac_f32_e32 v50, 0x3ee1c552, v38
	v_fmac_f32_e32 v39, 0x3ee1c552, v38
	;; [unrolled: 1-line block ×4, first 2 shown]
	v_add_f32_e32 v57, v51, v32
	v_sub_f32_e32 v67, v32, v51
	v_add_f32_e32 v32, v30, v41
	v_add_f32_e32 v38, v31, v40
	;; [unrolled: 1-line block ×3, first 2 shown]
	v_fmac_f32_e32 v43, 0x3ee1c552, v45
	v_sub_f32_e32 v58, v33, v50
	v_sub_f32_e32 v60, v46, v42
	;; [unrolled: 1-line block ×3, first 2 shown]
	v_add_f32_e32 v62, v39, v37
	v_add_f32_e32 v63, v44, v36
	v_sub_f32_e32 v64, v37, v39
	v_add_f32_e32 v66, v42, v46
	v_add_f32_e32 v68, v50, v33
	;; [unrolled: 1-line block ×7, first 2 shown]
	v_sub_f32_e32 v65, v47, v43
	v_sub_f32_e32 v36, v30, v41
	;; [unrolled: 1-line block ×5, first 2 shown]
	v_add_f32_e32 v43, v71, v72
	v_sub_f32_e32 v34, v35, v34
	v_sub_f32_e32 v35, v72, v71
	v_add_f32_e32 v45, v39, v33
	v_sub_f32_e32 v30, v38, v32
	v_sub_f32_e32 v46, v32, v42
	;; [unrolled: 1-line block ×3, first 2 shown]
	v_add_f32_e32 v42, v42, v44
	v_sub_f32_e32 v31, v39, v33
	v_sub_f32_e32 v47, v33, v43
	;; [unrolled: 1-line block ×3, first 2 shown]
	v_add_f32_e32 v38, v34, v40
	v_add_f32_e32 v39, v35, v41
	v_sub_f32_e32 v48, v34, v40
	v_sub_f32_e32 v49, v35, v41
	v_sub_f32_e32 v51, v37, v35
	v_sub_f32_e32 v35, v40, v36
	v_add_f32_e32 v44, v43, v45
	v_add_f32_e32 v28, v28, v42
	v_sub_f32_e32 v50, v36, v34
	v_sub_f32_e32 v41, v41, v37
	v_add_f32_e32 v36, v38, v36
	v_add_f32_e32 v29, v29, v44
	v_mul_f32_e32 v38, 0xbf08b237, v48
	v_mul_f32_e32 v34, 0xbf08b237, v49
	;; [unrolled: 1-line block ×3, first 2 shown]
	v_mov_b32_e32 v35, v28
	v_add_f32_e32 v37, v39, v37
	v_mul_f32_e32 v45, 0x3f4a47b2, v46
	v_mul_f32_e32 v46, 0x3f4a47b2, v47
	;; [unrolled: 1-line block ×3, first 2 shown]
	v_fmac_f32_e32 v35, 0xbf955555, v42
	v_mov_b32_e32 v43, v29
	v_mov_b32_e32 v41, v38
	;; [unrolled: 1-line block ×3, first 2 shown]
	v_fmac_f32_e32 v43, 0xbf955555, v44
	v_fma_f32 v44, v30, s15, -v45
	v_fmac_f32_e32 v45, 0x3d64c772, v32
	v_fma_f32 v47, v31, s15, -v46
	v_fmac_f32_e32 v46, 0x3d64c772, v33
	v_fmac_f32_e32 v41, 0x3eae86e6, v50
	;; [unrolled: 1-line block ×3, first 2 shown]
	v_fma_f32 v49, v50, s14, -v40
	v_fma_f32 v50, v51, s14, -v39
	v_add_f32_e32 v48, v45, v35
	v_add_f32_e32 v51, v46, v43
	;; [unrolled: 1-line block ×4, first 2 shown]
	v_fmac_f32_e32 v41, 0x3ee1c552, v36
	v_fmac_f32_e32 v42, 0x3ee1c552, v37
	;; [unrolled: 1-line block ×4, first 2 shown]
	v_sub_f32_e32 v44, v52, v50
	v_add_f32_e32 v45, v49, v53
	v_sub_f32_e32 v46, v48, v42
	v_add_f32_e32 v47, v41, v51
	ds_write2_b64 v114, v[54:55], v[57:58] offset1:34
	ds_write2_b64 v114, v[59:60], v[61:62] offset0:68 offset1:102
	ds_write2_b64 v114, v[63:64], v[65:66] offset0:136 offset1:170
	ds_write_b64 v114, v[67:68] offset:1632
	s_and_saveexec_b64 s[14:15], s[2:3]
	s_cbranch_execz .LBB0_11
; %bb.10:
	v_mul_f32_e32 v33, 0x3d64c772, v33
	v_mul_f32_e32 v31, 0x3f3bfb3b, v31
	v_sub_f32_e32 v31, v31, v33
	v_add_f32_e32 v33, v31, v43
	v_sub_f32_e32 v31, v40, v38
	v_mul_lo_u16_sdwa v38, v56, s16 dst_sel:DWORD dst_unused:UNUSED_PAD src0_sel:BYTE_0 src1_sel:DWORD
	v_mul_f32_e32 v32, 0x3d64c772, v32
	v_mul_f32_e32 v30, 0x3f3bfb3b, v30
	v_mul_f32_e32 v36, 0x3ee1c552, v36
	v_lshrrev_b16_e32 v38, 13, v38
	v_mul_f32_e32 v37, 0x3ee1c552, v37
	v_add_f32_e32 v36, v36, v31
	v_sub_f32_e32 v34, v39, v34
	v_sub_f32_e32 v30, v30, v32
	v_mul_u32_u24_e32 v38, 0xee, v38
	v_sub_f32_e32 v31, v33, v36
	v_add_f32_e32 v34, v37, v34
	v_add_f32_e32 v32, v30, v35
	;; [unrolled: 1-line block ×3, first 2 shown]
	v_sub_f32_e32 v37, v51, v41
	v_add_f32_e32 v36, v42, v48
	v_add_lshl_u32 v38, v38, v107, 3
	v_add_f32_e32 v30, v34, v32
	v_sub_f32_e32 v32, v32, v34
	v_sub_f32_e32 v35, v53, v49
	v_add_f32_e32 v34, v50, v52
	ds_write2_b64 v38, v[28:29], v[36:37] offset1:34
	ds_write2_b64 v38, v[34:35], v[32:33] offset0:68 offset1:102
	ds_write2_b64 v38, v[30:31], v[44:45] offset0:136 offset1:170
	ds_write_b64 v38, v[46:47] offset:1632
.LBB0_11:
	s_or_b64 exec, exec, s[14:15]
	v_mad_u64_u32 v[36:37], s[12:13], v104, 40, s[12:13]
	s_movk_i32 s13, 0x1000
	s_movk_i32 s12, 0x1980
	v_add_co_u32_e32 v38, vcc, s13, v36
	v_addc_co_u32_e32 v39, vcc, 0, v37, vcc
	v_add_co_u32_e32 v48, vcc, s12, v36
	s_waitcnt lgkmcnt(0)
	s_barrier
	global_load_dwordx4 v[32:35], v[36:37], off offset:1768
	global_load_dwordx4 v[28:31], v[36:37], off offset:1784
	global_load_dwordx2 v[87:88], v[36:37], off offset:1800
	global_load_dwordx4 v[40:43], v[38:39], off offset:2432
	v_addc_co_u32_e32 v49, vcc, 0, v37, vcc
	global_load_dwordx4 v[36:39], v[48:49], off offset:16
	global_load_dwordx2 v[89:90], v[48:49], off offset:32
	v_add_u32_e32 v72, 0x400, v105
	ds_read2_b64 v[68:71], v105 offset1:119
	v_add_u32_e32 v91, 0xc00, v105
	v_add_u32_e32 v92, 0x1400, v105
	;; [unrolled: 1-line block ×4, first 2 shown]
	ds_read2_b64 v[48:51], v72 offset0:110 offset1:229
	ds_read2_b64 v[52:55], v91 offset0:92 offset1:211
	;; [unrolled: 1-line block ×5, first 2 shown]
	s_waitcnt vmcnt(5) lgkmcnt(4)
	v_mul_f32_e32 v96, v48, v33
	s_waitcnt lgkmcnt(3)
	v_mul_f32_e32 v98, v52, v35
	s_waitcnt vmcnt(4) lgkmcnt(2)
	v_mul_f32_e32 v99, v57, v29
	s_waitcnt lgkmcnt(1)
	v_mul_f32_e32 v102, v60, v31
	v_mul_f32_e32 v95, v49, v33
	;; [unrolled: 1-line block ×5, first 2 shown]
	v_fmac_f32_e32 v96, v49, v32
	v_fmac_f32_e32 v98, v53, v34
	v_fma_f32 v49, v56, v28, -v99
	v_fmac_f32_e32 v102, v61, v30
	s_waitcnt vmcnt(2)
	v_mul_f32_e32 v56, v51, v41
	s_waitcnt lgkmcnt(0)
	v_mul_f32_e32 v115, v65, v88
	v_mul_f32_e32 v116, v64, v88
	v_fma_f32 v95, v48, v32, -v95
	v_fma_f32 v48, v52, v34, -v97
	;; [unrolled: 1-line block ×3, first 2 shown]
	s_waitcnt vmcnt(1)
	v_mul_f32_e32 v99, v62, v39
	s_waitcnt vmcnt(0)
	v_mul_f32_e32 v101, v67, v90
	v_fma_f32 v117, v50, v40, -v56
	v_add_f32_e32 v56, v98, v102
	v_fma_f32 v53, v64, v87, -v115
	v_fmac_f32_e32 v116, v65, v87
	v_mul_f32_e32 v65, v50, v41
	v_mul_f32_e32 v97, v63, v39
	;; [unrolled: 1-line block ×3, first 2 shown]
	v_fmac_f32_e32 v99, v63, v38
	v_fma_f32 v63, v66, v89, -v101
	v_fma_f32 v66, -0.5, v56, v69
	v_fmac_f32_e32 v65, v51, v40
	v_fmac_f32_e32 v115, v67, v89
	v_add_f32_e32 v50, v68, v48
	v_add_f32_e32 v51, v48, v52
	v_sub_f32_e32 v48, v48, v52
	v_mov_b32_e32 v67, v66
	v_fmac_f32_e32 v100, v57, v28
	v_mul_f32_e32 v57, v55, v43
	v_fmac_f32_e32 v66, 0x3f5db3d7, v48
	v_fmac_f32_e32 v67, 0xbf5db3d7, v48
	v_add_f32_e32 v48, v49, v53
	v_mul_f32_e32 v64, v58, v37
	v_fma_f32 v118, v54, v42, -v57
	v_add_f32_e32 v57, v95, v49
	v_fmac_f32_e32 v95, -0.5, v48
	v_mul_f32_e32 v61, v59, v37
	v_fmac_f32_e32 v64, v59, v36
	v_fma_f32 v59, -0.5, v51, v68
	v_sub_f32_e32 v48, v100, v116
	v_mov_b32_e32 v51, v95
	v_fmac_f32_e32 v51, 0x3f5db3d7, v48
	v_fmac_f32_e32 v95, 0xbf5db3d7, v48
	v_add_f32_e32 v48, v96, v100
	v_add_f32_e32 v68, v48, v116
	;; [unrolled: 1-line block ×3, first 2 shown]
	v_fmac_f32_e32 v96, -0.5, v48
	v_add_f32_e32 v56, v57, v53
	v_sub_f32_e32 v48, v49, v53
	v_mov_b32_e32 v53, v96
	v_mul_f32_e32 v60, v54, v43
	v_fmac_f32_e32 v53, 0xbf5db3d7, v48
	v_fmac_f32_e32 v60, v55, v42
	v_sub_f32_e32 v54, v98, v102
	v_add_f32_e32 v55, v69, v98
	v_mov_b32_e32 v57, v59
	v_mul_f32_e32 v69, 0x3f5db3d7, v53
	v_mul_f32_e32 v98, 0xbf5db3d7, v51
	v_fma_f32 v61, v58, v36, -v61
	v_fma_f32 v62, v62, v38, -v97
	v_add_f32_e32 v58, v50, v52
	v_fmac_f32_e32 v57, 0x3f5db3d7, v54
	v_fmac_f32_e32 v69, 0.5, v51
	v_fmac_f32_e32 v98, 0.5, v53
	v_fmac_f32_e32 v59, 0xbf5db3d7, v54
	v_fmac_f32_e32 v96, 0x3f5db3d7, v48
	v_add_f32_e32 v48, v58, v56
	v_add_f32_e32 v50, v57, v69
	;; [unrolled: 1-line block ×3, first 2 shown]
	v_sub_f32_e32 v54, v58, v56
	v_sub_f32_e32 v56, v57, v69
	;; [unrolled: 1-line block ×3, first 2 shown]
	v_add_f32_e32 v67, v118, v62
	v_add_f32_e32 v55, v55, v102
	v_fma_f32 v67, -0.5, v67, v70
	v_mul_f32_e32 v97, -0.5, v95
	v_add_f32_e32 v49, v55, v68
	v_sub_f32_e32 v55, v55, v68
	v_sub_f32_e32 v68, v60, v99
	v_mov_b32_e32 v69, v67
	v_fmac_f32_e32 v97, 0x3f5db3d7, v96
	v_mul_f32_e32 v96, -0.5, v96
	v_fmac_f32_e32 v69, 0x3f5db3d7, v68
	v_fmac_f32_e32 v67, 0xbf5db3d7, v68
	v_add_f32_e32 v68, v71, v60
	v_add_f32_e32 v60, v60, v99
	v_fmac_f32_e32 v96, 0xbf5db3d7, v95
	v_fmac_f32_e32 v71, -0.5, v60
	v_add_f32_e32 v52, v59, v97
	v_add_f32_e32 v53, v66, v96
	v_sub_f32_e32 v58, v59, v97
	v_sub_f32_e32 v59, v66, v96
	;; [unrolled: 1-line block ×3, first 2 shown]
	v_mov_b32_e32 v96, v71
	v_fmac_f32_e32 v96, 0xbf5db3d7, v60
	v_fmac_f32_e32 v71, 0x3f5db3d7, v60
	v_add_f32_e32 v60, v117, v61
	v_add_f32_e32 v95, v68, v99
	;; [unrolled: 1-line block ×4, first 2 shown]
	v_fmac_f32_e32 v117, -0.5, v60
	v_add_f32_e32 v66, v70, v118
	v_sub_f32_e32 v60, v64, v115
	v_mov_b32_e32 v70, v117
	v_fmac_f32_e32 v70, 0x3f5db3d7, v60
	v_fmac_f32_e32 v117, 0xbf5db3d7, v60
	v_add_f32_e32 v60, v65, v64
	v_add_f32_e32 v97, v60, v115
	;; [unrolled: 1-line block ×3, first 2 shown]
	v_fmac_f32_e32 v65, -0.5, v60
	v_sub_f32_e32 v60, v61, v63
	v_mov_b32_e32 v63, v65
	v_fmac_f32_e32 v63, 0xbf5db3d7, v60
	v_fmac_f32_e32 v65, 0x3f5db3d7, v60
	v_mul_f32_e32 v98, 0x3f5db3d7, v63
	v_mul_f32_e32 v99, -0.5, v117
	v_mul_f32_e32 v100, 0xbf5db3d7, v70
	v_mul_f32_e32 v101, -0.5, v65
	v_add_f32_e32 v66, v66, v62
	v_fmac_f32_e32 v98, 0.5, v70
	v_fmac_f32_e32 v99, 0x3f5db3d7, v65
	v_fmac_f32_e32 v100, 0.5, v63
	v_fmac_f32_e32 v101, 0xbf5db3d7, v117
	v_add_f32_e32 v60, v66, v68
	v_add_f32_e32 v62, v69, v98
	;; [unrolled: 1-line block ×6, first 2 shown]
	v_sub_f32_e32 v66, v66, v68
	v_sub_f32_e32 v68, v69, v98
	;; [unrolled: 1-line block ×6, first 2 shown]
	ds_write2_b64 v105, v[48:49], v[60:61] offset1:119
	ds_write2_b64 v72, v[50:51], v[62:63] offset0:110 offset1:229
	ds_write2_b64 v91, v[52:53], v[64:65] offset0:92 offset1:211
	;; [unrolled: 1-line block ×5, first 2 shown]
	s_waitcnt lgkmcnt(0)
	s_barrier
	s_and_saveexec_b64 s[12:13], s[0:1]
	s_cbranch_execz .LBB0_13
; %bb.12:
	v_mov_b32_e32 v72, s9
	v_add_co_u32_e32 v97, vcc, s8, v103
	v_addc_co_u32_e32 v72, vcc, 0, v72, vcc
	v_add_co_u32_e32 v91, vcc, 0x2ca0, v97
	v_addc_co_u32_e32 v92, vcc, 0, v72, vcc
	;; [unrolled: 2-line block ×3, first 2 shown]
	s_movk_i32 s14, 0x3000
	global_load_dwordx2 v[95:96], v[93:94], off offset:3232
	global_load_dwordx2 v[123:124], v[91:92], off offset:672
	global_load_dwordx2 v[125:126], v[91:92], off offset:1344
	global_load_dwordx2 v[127:128], v[91:92], off offset:2016
	global_load_dwordx2 v[129:130], v[91:92], off offset:2688
	global_load_dwordx2 v[131:132], v[91:92], off offset:3360
	v_add_co_u32_e32 v93, vcc, s14, v97
	v_addc_co_u32_e32 v94, vcc, 0, v72, vcc
	global_load_dwordx2 v[133:134], v[93:94], off offset:3840
	global_load_dwordx2 v[135:136], v[91:92], off offset:4032
	s_movk_i32 s14, 0x4000
	v_add_co_u32_e32 v91, vcc, s14, v97
	v_addc_co_u32_e32 v92, vcc, 0, v72, vcc
	global_load_dwordx2 v[137:138], v[91:92], off offset:416
	global_load_dwordx2 v[139:140], v[91:92], off offset:1088
	;; [unrolled: 1-line block ×5, first 2 shown]
	s_movk_i32 s14, 0x5000
	global_load_dwordx2 v[147:148], v[91:92], off offset:3776
	v_add_co_u32_e32 v91, vcc, s14, v97
	v_addc_co_u32_e32 v92, vcc, 0, v72, vcc
	global_load_dwordx2 v[149:150], v[91:92], off offset:352
	ds_read_b64 v[93:94], v105
	global_load_dwordx2 v[151:152], v[91:92], off offset:1024
	global_load_dwordx2 v[153:154], v[91:92], off offset:1696
	v_add_u32_e32 v72, 0x400, v103
	v_add_u32_e32 v157, 0x800, v103
	;; [unrolled: 1-line block ×4, first 2 shown]
	s_waitcnt vmcnt(16) lgkmcnt(0)
	v_mul_f32_e32 v91, v94, v96
	v_mul_f32_e32 v92, v93, v96
	v_fma_f32 v91, v93, v95, -v91
	v_fmac_f32_e32 v92, v94, v95
	ds_write_b64 v105, v[91:92]
	ds_read2_b64 v[91:94], v103 offset0:84 offset1:168
	ds_read2_b64 v[95:98], v72 offset0:124 offset1:208
	;; [unrolled: 1-line block ×5, first 2 shown]
	s_waitcnt vmcnt(15) lgkmcnt(4)
	v_mul_f32_e32 v155, v92, v124
	v_mul_f32_e32 v156, v91, v124
	s_waitcnt vmcnt(14)
	v_mul_f32_e32 v160, v94, v126
	v_mul_f32_e32 v124, v93, v126
	s_waitcnt vmcnt(13) lgkmcnt(3)
	v_mul_f32_e32 v161, v96, v128
	v_mul_f32_e32 v126, v95, v128
	s_waitcnt vmcnt(12)
	v_mul_f32_e32 v162, v98, v130
	v_mul_f32_e32 v128, v97, v130
	;; [unrolled: 6-line block ×3, first 2 shown]
	s_waitcnt lgkmcnt(1)
	v_mul_f32_e32 v165, v116, v134
	v_mul_f32_e32 v136, v115, v134
	s_waitcnt vmcnt(8)
	v_mul_f32_e32 v134, v118, v138
	v_fma_f32 v155, v91, v123, -v155
	v_fmac_f32_e32 v156, v92, v123
	v_fma_f32 v123, v93, v125, -v160
	v_fmac_f32_e32 v124, v94, v125
	v_mul_f32_e32 v92, v117, v138
	v_fma_f32 v125, v95, v127, -v161
	v_fmac_f32_e32 v126, v96, v127
	v_fma_f32 v127, v97, v129, -v162
	v_fmac_f32_e32 v128, v98, v129
	;; [unrolled: 2-line block ×5, first 2 shown]
	v_fma_f32 v91, v117, v137, -v134
	ds_write2_b64 v103, v[155:156], v[123:124] offset0:84 offset1:168
	ds_write2_b64 v72, v[125:126], v[127:128] offset0:124 offset1:208
	;; [unrolled: 1-line block ×3, first 2 shown]
	v_fmac_f32_e32 v92, v118, v137
	v_add_u32_e32 v101, 0x1800, v103
	ds_write2_b64 v158, v[135:136], v[91:92] offset0:76 offset1:160
	ds_read2_b64 v[91:94], v101 offset0:156 offset1:240
	s_waitcnt vmcnt(7) lgkmcnt(5)
	v_mul_f32_e32 v72, v120, v140
	v_fma_f32 v95, v119, v139, -v72
	v_mul_f32_e32 v96, v119, v140
	s_waitcnt vmcnt(6)
	v_mul_f32_e32 v72, v122, v142
	v_mul_f32_e32 v98, v121, v142
	v_fmac_f32_e32 v96, v120, v139
	v_fma_f32 v97, v121, v141, -v72
	v_fmac_f32_e32 v98, v122, v141
	s_waitcnt vmcnt(5) lgkmcnt(0)
	v_mul_f32_e32 v72, v92, v144
	v_mul_f32_e32 v100, v91, v144
	v_add_u32_e32 v102, 0x2000, v103
	ds_write2_b64 v159, v[95:96], v[97:98] offset0:116 offset1:200
	v_fma_f32 v99, v91, v143, -v72
	v_fmac_f32_e32 v100, v92, v143
	s_waitcnt vmcnt(4)
	v_mul_f32_e32 v72, v94, v146
	ds_read2_b64 v[95:98], v102 offset0:68 offset1:152
	v_mul_f32_e32 v92, v93, v146
	v_fma_f32 v91, v93, v145, -v72
	v_fmac_f32_e32 v92, v94, v145
	ds_write2_b64 v101, v[99:100], v[91:92] offset0:156 offset1:240
	v_add_u32_e32 v101, 0x2400, v103
	ds_read2_b64 v[91:94], v101 offset0:108 offset1:192
	s_waitcnt vmcnt(3) lgkmcnt(2)
	v_mul_f32_e32 v72, v96, v148
	v_mul_f32_e32 v100, v95, v148
	v_fma_f32 v99, v95, v147, -v72
	v_fmac_f32_e32 v100, v96, v147
	s_waitcnt vmcnt(2)
	v_mul_f32_e32 v72, v98, v150
	v_mul_f32_e32 v96, v97, v150
	v_fma_f32 v95, v97, v149, -v72
	v_fmac_f32_e32 v96, v98, v149
	ds_write2_b64 v102, v[99:100], v[95:96] offset0:68 offset1:152
	s_waitcnt vmcnt(1) lgkmcnt(1)
	v_mul_f32_e32 v72, v92, v152
	v_mul_f32_e32 v96, v91, v152
	v_fma_f32 v95, v91, v151, -v72
	v_fmac_f32_e32 v96, v92, v151
	s_waitcnt vmcnt(0)
	v_mul_f32_e32 v72, v94, v154
	v_mul_f32_e32 v92, v93, v154
	v_fma_f32 v91, v93, v153, -v72
	v_fmac_f32_e32 v92, v94, v153
	ds_write2_b64 v101, v[95:96], v[91:92] offset0:108 offset1:192
.LBB0_13:
	s_or_b64 exec, exec, s[12:13]
	s_waitcnt lgkmcnt(0)
	s_barrier
	s_and_saveexec_b64 s[12:13], s[0:1]
	s_cbranch_execz .LBB0_15
; %bb.14:
	v_add_u32_e32 v0, 0x800, v105
	ds_read2_b64 v[48:51], v105 offset1:84
	ds_read2_b64 v[52:55], v105 offset0:168 offset1:252
	ds_read2_b64 v[56:59], v0 offset0:80 offset1:164
	v_add_u32_e32 v0, 0xc00, v105
	ds_read2_b64 v[60:63], v0 offset0:120 offset1:204
	v_add_u32_e32 v0, 0x1000, v105
	;; [unrolled: 2-line block ×5, first 2 shown]
	ds_read2_b64 v[0:3], v0 offset0:152 offset1:236
	ds_read_b64 v[73:74], v105 offset:10752
.LBB0_15:
	s_or_b64 exec, exec, s[12:13]
	s_waitcnt lgkmcnt(0)
	v_sub_f32_e32 v131, v51, v74
	v_add_f32_e32 v115, v73, v50
	v_add_f32_e32 v133, v74, v51
	s_mov_b32 s14, 0x3dbcf732
	v_mul_f32_e32 v147, 0xbf7ee86f, v131
	v_sub_f32_e32 v132, v53, v3
	v_mul_f32_e32 v148, 0x3dbcf732, v133
	v_fma_f32 v72, v115, s14, -v147
	v_add_f32_e32 v116, v2, v52
	v_add_f32_e32 v135, v3, v53
	s_mov_b32 s16, 0xbf7ba420
	v_mul_f32_e32 v149, 0xbe3c28d5, v132
	v_sub_f32_e32 v117, v50, v73
	v_add_f32_e32 v72, v48, v72
	v_mov_b32_e32 v91, v148
	v_mul_f32_e32 v150, 0xbf7ba420, v135
	v_fma_f32 v94, v116, s16, -v149
	v_fmac_f32_e32 v91, 0xbf7ee86f, v117
	s_mov_b32 s15, 0xbe8c1d8e
	v_mul_f32_e32 v152, 0xbf763a35, v131
	v_sub_f32_e32 v119, v52, v2
	v_add_f32_e32 v72, v94, v72
	v_mov_b32_e32 v94, v150
	v_add_f32_e32 v91, v49, v91
	v_mul_f32_e32 v155, 0xbe8c1d8e, v133
	v_fma_f32 v92, v115, s15, -v152
	v_fmac_f32_e32 v94, 0xbe3c28d5, v119
	s_mov_b32 s17, 0xbf59a7d5
	v_mul_f32_e32 v156, 0x3f06c442, v132
	v_add_f32_e32 v92, v48, v92
	v_mov_b32_e32 v93, v155
	v_add_f32_e32 v91, v94, v91
	v_mul_f32_e32 v159, 0xbf59a7d5, v135
	v_fma_f32 v94, v116, s17, -v156
	v_fmac_f32_e32 v93, 0xbf763a35, v117
	v_add_f32_e32 v92, v94, v92
	v_mov_b32_e32 v94, v159
	v_sub_f32_e32 v134, v55, v1
	v_add_f32_e32 v93, v49, v93
	v_fmac_f32_e32 v94, 0x3f06c442, v119
	v_add_f32_e32 v118, v0, v54
	v_add_f32_e32 v137, v1, v55
	v_mul_f32_e32 v151, 0x3f763a35, v134
	v_add_f32_e32 v93, v94, v93
	v_mul_f32_e32 v153, 0xbe8c1d8e, v137
	v_fma_f32 v94, v118, s15, -v151
	v_sub_f32_e32 v121, v54, v0
	v_add_f32_e32 v72, v94, v72
	v_mov_b32_e32 v94, v153
	v_fmac_f32_e32 v94, 0x3f763a35, v121
	s_mov_b32 s18, 0x3f3d2fb0
	v_mul_f32_e32 v160, 0x3f2c7751, v134
	v_add_f32_e32 v91, v94, v91
	v_mul_f32_e32 v163, 0x3f3d2fb0, v137
	v_fma_f32 v94, v118, s18, -v160
	v_add_f32_e32 v92, v94, v92
	v_mov_b32_e32 v94, v163
	v_sub_f32_e32 v136, v57, v47
	v_fmac_f32_e32 v94, 0x3f2c7751, v121
	v_add_f32_e32 v120, v46, v56
	v_add_f32_e32 v139, v47, v57
	s_mov_b32 s19, 0x3f6eb680
	v_mul_f32_e32 v154, 0x3eb8f4ab, v136
	v_add_f32_e32 v93, v94, v93
	v_mul_f32_e32 v157, 0x3f6eb680, v139
	v_fma_f32 v94, v120, s19, -v154
	v_sub_f32_e32 v123, v56, v46
	v_add_f32_e32 v72, v94, v72
	v_mov_b32_e32 v94, v157
	v_fmac_f32_e32 v94, 0x3eb8f4ab, v123
	s_mov_b32 s20, 0x3ee437d1
	v_mul_f32_e32 v164, 0xbf65296c, v136
	v_add_f32_e32 v91, v94, v91
	v_mul_f32_e32 v168, 0x3ee437d1, v139
	v_fma_f32 v94, v120, s20, -v164
	v_add_f32_e32 v92, v94, v92
	v_mov_b32_e32 v94, v168
	v_sub_f32_e32 v138, v59, v45
	v_fmac_f32_e32 v94, 0xbf65296c, v123
	v_add_f32_e32 v122, v44, v58
	v_add_f32_e32 v142, v45, v59
	v_mul_f32_e32 v158, 0xbf65296c, v138
	v_add_f32_e32 v93, v94, v93
	v_mul_f32_e32 v162, 0x3ee437d1, v142
	v_fma_f32 v94, v122, s20, -v158
	v_sub_f32_e32 v125, v58, v44
	v_add_f32_e32 v72, v94, v72
	v_mov_b32_e32 v94, v162
	v_fmac_f32_e32 v94, 0xbf65296c, v125
	v_mul_f32_e32 v167, 0xbe3c28d5, v138
	v_add_f32_e32 v91, v94, v91
	v_mul_f32_e32 v172, 0xbf7ba420, v142
	v_fma_f32 v94, v122, s16, -v167
	v_add_f32_e32 v92, v94, v92
	v_mov_b32_e32 v94, v172
	v_sub_f32_e32 v140, v61, v71
	v_fmac_f32_e32 v94, 0xbe3c28d5, v125
	v_add_f32_e32 v124, v70, v60
	v_add_f32_e32 v144, v71, v61
	v_mul_f32_e32 v161, 0xbf06c442, v140
	v_add_f32_e32 v93, v94, v93
	v_mul_f32_e32 v165, 0xbf59a7d5, v144
	v_fma_f32 v94, v124, s17, -v161
	v_sub_f32_e32 v127, v60, v70
	v_add_f32_e32 v72, v94, v72
	v_mov_b32_e32 v94, v165
	v_fmac_f32_e32 v94, 0xbf06c442, v127
	v_mul_f32_e32 v171, 0x3f7ee86f, v140
	v_add_f32_e32 v91, v94, v91
	v_mul_f32_e32 v174, 0x3dbcf732, v144
	v_fma_f32 v94, v124, s14, -v171
	v_add_f32_e32 v92, v94, v92
	v_mov_b32_e32 v94, v174
	v_sub_f32_e32 v141, v63, v69
	v_fmac_f32_e32 v94, 0x3f7ee86f, v127
	v_add_f32_e32 v126, v68, v62
	v_add_f32_e32 v145, v69, v63
	s_mov_b32 s21, 0xbf1a4643
	v_mul_f32_e32 v166, 0x3f4c4adb, v141
	v_add_f32_e32 v93, v94, v93
	v_mul_f32_e32 v170, 0xbf1a4643, v145
	v_fma_f32 v94, v126, s21, -v166
	v_sub_f32_e32 v129, v62, v68
	v_add_f32_e32 v72, v94, v72
	v_mov_b32_e32 v94, v170
	v_fmac_f32_e32 v94, 0x3f4c4adb, v129
	v_mul_f32_e32 v175, 0xbeb8f4ab, v141
	v_add_f32_e32 v91, v94, v91
	v_mul_f32_e32 v177, 0x3f6eb680, v145
	v_fma_f32 v94, v126, s19, -v175
	v_add_f32_e32 v92, v94, v92
	v_mov_b32_e32 v94, v177
	v_sub_f32_e32 v143, v65, v67
	v_fmac_f32_e32 v94, 0xbeb8f4ab, v129
	v_add_f32_e32 v128, v66, v64
	v_add_f32_e32 v146, v67, v65
	v_mul_f32_e32 v169, 0x3f2c7751, v143
	v_add_f32_e32 v95, v94, v93
	v_mul_f32_e32 v173, 0x3f3d2fb0, v146
	v_fma_f32 v93, v128, s18, -v169
	v_sub_f32_e32 v130, v64, v66
	v_add_f32_e32 v93, v93, v72
	v_mov_b32_e32 v72, v173
	v_fmac_f32_e32 v72, 0x3f2c7751, v130
	v_mul_f32_e32 v176, 0xbf4c4adb, v143
	v_add_f32_e32 v94, v72, v91
	v_mul_f32_e32 v178, 0xbf1a4643, v146
	v_fma_f32 v72, v128, s21, -v176
	v_add_f32_e32 v91, v72, v92
	v_mov_b32_e32 v72, v178
	v_fmac_f32_e32 v72, 0xbf4c4adb, v130
	v_add_f32_e32 v92, v72, v95
	s_barrier
	s_and_saveexec_b64 s[12:13], s[0:1]
	s_cbranch_execz .LBB0_17
; %bb.16:
	v_mul_f32_e32 v181, 0xbf4c4adb, v117
	v_mov_b32_e32 v95, v181
	v_mul_f32_e32 v182, 0x3f763a35, v119
	v_fmac_f32_e32 v95, 0xbf1a4643, v133
	v_mov_b32_e32 v96, v182
	v_add_f32_e32 v95, v49, v95
	v_fmac_f32_e32 v96, 0xbe8c1d8e, v135
	v_mul_f32_e32 v214, 0xbeb8f4ab, v121
	v_add_f32_e32 v95, v96, v95
	v_mov_b32_e32 v96, v214
	v_fmac_f32_e32 v96, 0x3f6eb680, v137
	v_mul_f32_e32 v215, 0xbf06c442, v123
	v_add_f32_e32 v95, v96, v95
	v_mov_b32_e32 v96, v215
	;; [unrolled: 4-line block ×6, first 2 shown]
	v_fmac_f32_e32 v96, 0x3ee437d1, v146
	v_mul_f32_e32 v220, 0xbf4c4adb, v131
	v_add_f32_e32 v96, v96, v95
	v_fma_f32 v95, v115, s21, -v220
	v_mul_f32_e32 v221, 0x3f763a35, v132
	v_add_f32_e32 v95, v48, v95
	v_fma_f32 v97, v116, s15, -v221
	;; [unrolled: 3-line block ×8, first 2 shown]
	buffer_store_dword v111, off, s[24:27], 0 ; 4-byte Folded Spill
	buffer_store_dword v113, off, s[24:27], 0 offset:4 ; 4-byte Folded Spill
	v_mov_b32_e32 v111, v107
	v_mov_b32_e32 v107, v179
	v_mul_f32_e32 v179, 0xbf06c442, v117
	v_add_f32_e32 v95, v97, v95
	v_mov_b32_e32 v97, v179
	v_mul_f32_e32 v180, 0x3f65296c, v119
	v_fmac_f32_e32 v97, 0xbf59a7d5, v133
	v_mov_b32_e32 v98, v180
	v_add_f32_e32 v97, v49, v97
	v_fmac_f32_e32 v98, 0x3ee437d1, v135
	v_mul_f32_e32 v228, 0xbf7ee86f, v121
	v_add_f32_e32 v97, v98, v97
	v_mov_b32_e32 v98, v228
	v_fmac_f32_e32 v98, 0x3dbcf732, v137
	v_mul_f32_e32 v229, 0x3f4c4adb, v123
	v_add_f32_e32 v97, v98, v97
	v_mov_b32_e32 v98, v229
	;; [unrolled: 4-line block ×6, first 2 shown]
	v_fmac_f32_e32 v98, 0xbe8c1d8e, v146
	v_mul_f32_e32 v234, 0xbf06c442, v131
	v_add_f32_e32 v98, v98, v97
	v_fma_f32 v97, v115, s17, -v234
	v_mul_f32_e32 v235, 0x3f65296c, v132
	v_add_f32_e32 v97, v48, v97
	v_fma_f32 v99, v116, s20, -v235
	;; [unrolled: 3-line block ×8, first 2 shown]
	v_mul_f32_e32 v101, 0xbe3c28d5, v117
	v_add_f32_e32 v97, v99, v97
	v_mov_b32_e32 v99, v101
	v_mul_f32_e32 v102, 0x3eb8f4ab, v119
	v_fmac_f32_e32 v99, 0xbf7ba420, v133
	v_mov_b32_e32 v100, v102
	v_add_f32_e32 v99, v49, v99
	v_fmac_f32_e32 v100, 0x3f6eb680, v135
	v_mul_f32_e32 v242, 0xbf06c442, v121
	v_add_f32_e32 v99, v100, v99
	v_mov_b32_e32 v100, v242
	v_fmac_f32_e32 v100, 0xbf59a7d5, v137
	v_mul_f32_e32 v243, 0x3f2c7751, v123
	v_add_f32_e32 v99, v100, v99
	v_mov_b32_e32 v100, v243
	;; [unrolled: 4-line block ×6, first 2 shown]
	v_fmac_f32_e32 v100, 0x3dbcf732, v146
	v_mul_f32_e32 v248, 0xbe3c28d5, v131
	v_add_f32_e32 v100, v100, v99
	v_fma_f32 v99, v115, s16, -v248
	v_mul_f32_e32 v249, 0x3eb8f4ab, v132
	v_add_f32_e32 v99, v48, v99
	v_fma_f32 v250, v116, s19, -v249
	v_add_f32_e32 v99, v250, v99
	v_mul_f32_e32 v250, 0xbf06c442, v134
	v_fma_f32 v251, v118, s17, -v250
	v_add_f32_e32 v99, v251, v99
	v_mul_f32_e32 v251, 0x3f2c7751, v136
	;; [unrolled: 3-line block ×6, first 2 shown]
	v_mov_b32_e32 v113, v109
	v_mov_b32_e32 v109, v112
	;; [unrolled: 1-line block ×5, first 2 shown]
	v_fma_f32 v106, v128, s14, -v255
	v_add_f32_e32 v99, v106, v99
	v_fma_f32 v106, v133, s17, -v179
	v_add_f32_e32 v106, v49, v106
	;; [unrolled: 2-line block ×8, first 2 shown]
	v_fma_f32 v179, v146, s15, -v233
	v_fmac_f32_e32 v234, 0xbf59a7d5, v115
	v_add_f32_e32 v180, v179, v106
	v_add_f32_e32 v106, v48, v234
	v_fmac_f32_e32 v235, 0x3ee437d1, v116
	v_add_f32_e32 v106, v235, v106
	v_fmac_f32_e32 v236, 0x3dbcf732, v118
	v_add_f32_e32 v106, v236, v106
	v_fmac_f32_e32 v237, 0xbf1a4643, v120
	v_add_f32_e32 v106, v237, v106
	v_fmac_f32_e32 v238, 0x3f6eb680, v122
	v_add_f32_e32 v106, v238, v106
	v_fmac_f32_e32 v239, 0xbf7ba420, v124
	v_add_f32_e32 v106, v239, v106
	v_fmac_f32_e32 v240, 0x3f3d2fb0, v126
	v_add_f32_e32 v106, v240, v106
	v_fmac_f32_e32 v241, 0xbe8c1d8e, v128
	v_add_f32_e32 v179, v241, v106
	v_fma_f32 v106, v133, s21, -v181
	v_add_f32_e32 v106, v49, v106
	v_fma_f32 v181, v135, s15, -v182
	;; [unrolled: 2-line block ×8, first 2 shown]
	v_fmac_f32_e32 v220, 0xbf1a4643, v115
	v_add_f32_e32 v182, v181, v106
	v_add_f32_e32 v106, v48, v220
	v_fmac_f32_e32 v221, 0xbe8c1d8e, v116
	v_add_f32_e32 v106, v221, v106
	v_fmac_f32_e32 v222, 0x3f6eb680, v118
	v_add_f32_e32 v106, v222, v106
	v_fmac_f32_e32 v223, 0xbf59a7d5, v120
	v_add_f32_e32 v106, v223, v106
	v_fmac_f32_e32 v224, 0x3dbcf732, v122
	v_add_f32_e32 v106, v224, v106
	v_fmac_f32_e32 v225, 0x3f3d2fb0, v124
	v_add_f32_e32 v106, v225, v106
	v_fmac_f32_e32 v226, 0xbf7ba420, v126
	v_mul_f32_e32 v185, 0xbf763a35, v117
	v_add_f32_e32 v106, v226, v106
	v_fmac_f32_e32 v227, 0x3ee437d1, v128
	v_mul_f32_e32 v189, 0x3f06c442, v119
	v_add_f32_e32 v181, v227, v106
	v_sub_f32_e32 v106, v155, v185
	v_mul_f32_e32 v193, 0x3f2c7751, v121
	v_add_f32_e32 v106, v49, v106
	v_sub_f32_e32 v155, v159, v189
	;; [unrolled: 3-line block ×8, first 2 shown]
	v_mul_f32_e32 v188, 0xbf59a7d5, v116
	v_add_f32_e32 v168, v155, v106
	v_add_f32_e32 v106, v184, v152
	v_mul_f32_e32 v192, 0x3f3d2fb0, v118
	v_add_f32_e32 v106, v48, v106
	v_add_f32_e32 v152, v188, v156
	;; [unrolled: 3-line block ×8, first 2 shown]
	v_mul_f32_e32 v187, 0xbe3c28d5, v119
	v_add_f32_e32 v167, v152, v106
	v_sub_f32_e32 v106, v148, v183
	v_mul_f32_e32 v191, 0x3f763a35, v121
	v_add_f32_e32 v106, v49, v106
	v_sub_f32_e32 v148, v150, v187
	;; [unrolled: 3-line block ×6, first 2 shown]
	v_mul_f32_e32 v72, 0x3dbcf732, v115
	v_mul_f32_e32 v211, 0x3f2c7751, v130
	v_add_f32_e32 v106, v148, v106
	v_sub_f32_e32 v148, v170, v207
	v_mul_f32_e32 v186, 0xbf7ba420, v116
	v_add_f32_e32 v106, v148, v106
	v_sub_f32_e32 v148, v173, v211
	v_add_f32_e32 v72, v72, v147
	v_mul_f32_e32 v190, 0xbe8c1d8e, v118
	v_add_f32_e32 v148, v148, v106
	v_add_f32_e32 v72, v48, v72
	;; [unrolled: 1-line block ×3, first 2 shown]
	v_mul_f32_e32 v194, 0x3f6eb680, v120
	v_add_f32_e32 v72, v106, v72
	v_add_f32_e32 v106, v190, v151
	v_mul_f32_e32 v198, 0x3ee437d1, v122
	v_add_f32_e32 v72, v106, v72
	v_add_f32_e32 v106, v194, v154
	;; [unrolled: 3-line block ×5, first 2 shown]
	v_add_f32_e32 v72, v106, v72
	v_add_f32_e32 v106, v210, v169
	;; [unrolled: 1-line block ×3, first 2 shown]
	v_mul_f32_e32 v72, 0x3ee437d1, v133
	v_mov_b32_e32 v106, v72
	v_mul_f32_e32 v153, 0xbf1a4643, v135
	v_fmac_f32_e32 v106, 0x3f65296c, v117
	v_mov_b32_e32 v149, v153
	v_add_f32_e32 v106, v49, v106
	v_fmac_f32_e32 v149, 0x3f4c4adb, v119
	v_mul_f32_e32 v154, 0xbf7ba420, v137
	v_add_f32_e32 v106, v149, v106
	v_mov_b32_e32 v149, v154
	v_fmac_f32_e32 v149, 0xbe3c28d5, v121
	v_mul_f32_e32 v155, 0xbe8c1d8e, v139
	v_add_f32_e32 v106, v149, v106
	v_mov_b32_e32 v149, v155
	;; [unrolled: 4-line block ×6, first 2 shown]
	v_fmac_f32_e32 v149, 0x3f06c442, v130
	v_add_f32_e32 v150, v149, v106
	v_mul_f32_e32 v106, 0xbf65296c, v131
	v_mov_b32_e32 v149, v106
	v_mul_f32_e32 v160, 0xbf4c4adb, v132
	v_fmac_f32_e32 v149, 0x3ee437d1, v115
	v_mov_b32_e32 v151, v160
	v_add_f32_e32 v149, v48, v149
	v_fmac_f32_e32 v151, 0xbf1a4643, v116
	v_mul_f32_e32 v161, 0x3e3c28d5, v134
	v_add_f32_e32 v149, v151, v149
	v_mov_b32_e32 v151, v161
	v_fmac_f32_e32 v151, 0xbf7ba420, v118
	v_mul_f32_e32 v162, 0x3f763a35, v136
	v_add_f32_e32 v149, v151, v149
	v_mov_b32_e32 v151, v162
	;; [unrolled: 4-line block ×3, first 2 shown]
	v_fmac_f32_e32 v151, 0x3f3d2fb0, v122
	v_mul_f32_e32 v164, 0xbeb8f4ab, v140
	v_add_f32_e32 v51, v51, v49
	v_add_f32_e32 v149, v151, v149
	v_mov_b32_e32 v151, v164
	v_add_f32_e32 v51, v53, v51
	v_fmac_f32_e32 v151, 0x3f6eb680, v124
	v_mul_f32_e32 v165, 0xbf7ee86f, v141
	v_add_f32_e32 v51, v55, v51
	v_add_f32_e32 v149, v151, v149
	v_mov_b32_e32 v151, v165
	v_add_f32_e32 v51, v57, v51
	;; [unrolled: 6-line block ×3, first 2 shown]
	v_fmac_f32_e32 v151, 0xbf59a7d5, v128
	v_mul_f32_e32 v169, 0x3f3d2fb0, v133
	v_add_f32_e32 v51, v63, v51
	v_add_f32_e32 v149, v151, v149
	v_mov_b32_e32 v151, v169
	v_mul_f32_e32 v170, 0x3dbcf732, v135
	v_add_f32_e32 v51, v65, v51
	v_fmac_f32_e32 v151, 0x3f2c7751, v117
	v_mov_b32_e32 v152, v170
	v_add_f32_e32 v51, v67, v51
	v_add_f32_e32 v151, v49, v151
	v_fmac_f32_e32 v152, 0x3f7ee86f, v119
	v_mul_f32_e32 v171, 0xbf1a4643, v137
	v_add_f32_e32 v51, v69, v51
	v_add_f32_e32 v151, v152, v151
	v_mov_b32_e32 v152, v171
	v_add_f32_e32 v51, v71, v51
	v_fmac_f32_e32 v152, 0x3f4c4adb, v121
	v_mul_f32_e32 v172, 0xbf7ba420, v139
	v_add_f32_e32 v45, v45, v51
	v_add_f32_e32 v151, v152, v151
	v_mov_b32_e32 v152, v172
	;; [unrolled: 6-line block ×3, first 2 shown]
	v_add_f32_e32 v1, v3, v1
	v_add_f32_e32 v3, v50, v48
	v_fmac_f32_e32 v152, 0xbf06c442, v125
	v_mul_f32_e32 v174, 0xbe8c1d8e, v144
	v_add_f32_e32 v3, v52, v3
	v_add_f32_e32 v151, v152, v151
	v_mov_b32_e32 v152, v174
	v_add_f32_e32 v3, v54, v3
	v_fmac_f32_e32 v152, 0xbf763a35, v127
	v_mul_f32_e32 v175, 0x3ee437d1, v145
	v_add_f32_e32 v3, v56, v3
	v_add_f32_e32 v151, v152, v151
	v_mov_b32_e32 v152, v175
	;; [unrolled: 6-line block ×4, first 2 shown]
	v_mul_f32_e32 v178, 0xbf7ee86f, v132
	v_add_f32_e32 v3, v66, v3
	v_fmac_f32_e32 v151, 0x3f3d2fb0, v115
	v_mov_b32_e32 v183, v178
	v_add_f32_e32 v3, v68, v3
	v_add_f32_e32 v151, v48, v151
	v_fmac_f32_e32 v183, 0x3dbcf732, v116
	v_add_f32_e32 v3, v70, v3
	v_add_f32_e32 v151, v183, v151
	v_mul_f32_e32 v183, 0xbf4c4adb, v134
	v_add_f32_e32 v3, v44, v3
	v_mov_b32_e32 v184, v183
	v_add_f32_e32 v3, v46, v3
	v_fmac_f32_e32 v184, 0xbf1a4643, v118
	v_add_f32_e32 v0, v0, v3
	v_fmac_f32_e32 v72, 0xbf65296c, v117
	v_add_f32_e32 v151, v184, v151
	v_mul_f32_e32 v184, 0xbe3c28d5, v136
	v_add_f32_e32 v0, v2, v0
	v_add_f32_e32 v2, v49, v72
	v_fmac_f32_e32 v153, 0xbf4c4adb, v119
	v_mov_b32_e32 v185, v184
	v_add_f32_e32 v2, v153, v2
	v_fmac_f32_e32 v154, 0x3e3c28d5, v121
	v_fmac_f32_e32 v185, 0xbf7ba420, v120
	v_add_f32_e32 v2, v154, v2
	v_fmac_f32_e32 v155, 0x3f763a35, v123
	v_add_f32_e32 v151, v185, v151
	v_mul_f32_e32 v185, 0x3f06c442, v138
	v_add_f32_e32 v2, v155, v2
	v_fmac_f32_e32 v156, 0x3f2c7751, v125
	v_mov_b32_e32 v186, v185
	v_add_f32_e32 v2, v156, v2
	v_fmac_f32_e32 v157, 0xbeb8f4ab, v127
	v_fmac_f32_e32 v186, 0xbf59a7d5, v122
	v_add_f32_e32 v2, v157, v2
	v_fmac_f32_e32 v158, 0xbf7ee86f, v129
	v_add_f32_e32 v151, v186, v151
	v_mul_f32_e32 v186, 0x3f763a35, v140
	v_add_f32_e32 v2, v158, v2
	v_fmac_f32_e32 v159, 0xbf06c442, v130
	v_mov_b32_e32 v187, v186
	v_add_f32_e32 v3, v159, v2
	v_fma_f32 v2, v115, s20, -v106
	v_fmac_f32_e32 v187, 0xbe8c1d8e, v124
	v_add_f32_e32 v2, v48, v2
	v_fma_f32 v44, v116, s21, -v160
	v_add_f32_e32 v151, v187, v151
	v_mul_f32_e32 v187, 0x3f65296c, v141
	v_add_f32_e32 v2, v44, v2
	v_fma_f32 v44, v118, s16, -v161
	v_mov_b32_e32 v188, v187
	v_add_f32_e32 v2, v44, v2
	v_fma_f32 v44, v120, s15, -v162
	v_fmac_f32_e32 v188, 0x3ee437d1, v126
	v_add_f32_e32 v2, v44, v2
	v_fma_f32 v44, v122, s18, -v163
	v_add_f32_e32 v151, v188, v151
	v_mul_f32_e32 v188, 0x3eb8f4ab, v143
	v_add_f32_e32 v2, v44, v2
	v_fma_f32 v44, v124, s19, -v164
	v_mov_b32_e32 v189, v188
	v_add_f32_e32 v2, v44, v2
	v_fma_f32 v44, v126, s14, -v165
	v_fmac_f32_e32 v189, 0x3f6eb680, v128
	v_add_f32_e32 v2, v44, v2
	v_fma_f32 v44, v128, s17, -v166
	v_fmac_f32_e32 v169, 0xbf2c7751, v117
	v_add_f32_e32 v151, v189, v151
	v_mul_f32_e32 v189, 0x3f6eb680, v133
	v_add_f32_e32 v2, v44, v2
	v_add_f32_e32 v44, v49, v169
	v_fmac_f32_e32 v170, 0xbf7ee86f, v119
	v_fma_f32 v101, v133, s16, -v101
	v_fma_f32 v102, v135, s19, -v102
	v_mov_b32_e32 v133, v189
	v_mul_f32_e32 v135, 0x3f3d2fb0, v135
	v_add_f32_e32 v44, v170, v44
	v_fmac_f32_e32 v171, 0xbf4c4adb, v121
	v_add_f32_e32 v101, v49, v101
	v_fmac_f32_e32 v133, 0x3eb8f4ab, v117
	v_mov_b32_e32 v190, v135
	v_add_f32_e32 v44, v171, v44
	v_fmac_f32_e32 v172, 0xbe3c28d5, v123
	v_add_f32_e32 v101, v102, v101
	v_fma_f32 v102, v137, s17, -v242
	v_add_f32_e32 v133, v49, v133
	v_fmac_f32_e32 v190, 0x3f2c7751, v119
	v_mul_f32_e32 v137, 0x3ee437d1, v137
	v_add_f32_e32 v44, v172, v44
	v_fmac_f32_e32 v173, 0x3f06c442, v125
	v_add_f32_e32 v133, v190, v133
	v_mov_b32_e32 v190, v137
	v_add_f32_e32 v44, v173, v44
	v_fmac_f32_e32 v174, 0x3f763a35, v127
	v_add_f32_e32 v101, v102, v101
	v_fma_f32 v102, v139, s18, -v243
	v_fmac_f32_e32 v190, 0x3f65296c, v121
	v_mul_f32_e32 v139, 0x3dbcf732, v139
	v_add_f32_e32 v44, v174, v44
	v_fmac_f32_e32 v175, 0x3f65296c, v129
	v_add_f32_e32 v133, v190, v133
	v_mov_b32_e32 v190, v139
	v_add_f32_e32 v44, v175, v44
	v_fmac_f32_e32 v176, 0x3eb8f4ab, v130
	v_add_f32_e32 v101, v102, v101
	v_fma_f32 v102, v142, s21, -v244
	v_fmac_f32_e32 v190, 0x3f7ee86f, v123
	v_mul_f32_e32 v142, 0xbe8c1d8e, v142
	v_add_f32_e32 v45, v176, v44
	v_fma_f32 v44, v115, s18, -v177
	v_add_f32_e32 v133, v190, v133
	v_mov_b32_e32 v190, v142
	v_add_f32_e32 v44, v48, v44
	v_fma_f32 v46, v116, s14, -v178
	v_add_f32_e32 v101, v102, v101
	v_fma_f32 v102, v144, s20, -v245
	v_fmac_f32_e32 v190, 0x3f763a35, v125
	v_mul_f32_e32 v144, 0xbf1a4643, v144
	v_add_f32_e32 v44, v46, v44
	v_fma_f32 v46, v118, s21, -v183
	v_add_f32_e32 v133, v190, v133
	v_mov_b32_e32 v190, v144
	v_add_f32_e32 v44, v46, v44
	v_fma_f32 v46, v120, s16, -v184
	;; [unrolled: 10-line block ×4, first 2 shown]
	v_fmac_f32_e32 v189, 0xbeb8f4ab, v117
	v_fmac_f32_e32 v190, 0x3e3c28d5, v130
	v_mul_f32_e32 v131, 0xbeb8f4ab, v131
	v_add_f32_e32 v44, v46, v44
	v_add_f32_e32 v46, v49, v189
	v_fmac_f32_e32 v135, 0xbf2c7751, v119
	v_add_f32_e32 v133, v190, v133
	v_mov_b32_e32 v190, v131
	v_mul_f32_e32 v191, 0xbf2c7751, v132
	v_add_f32_e32 v46, v135, v46
	v_fmac_f32_e32 v137, 0xbf65296c, v121
	v_fmac_f32_e32 v190, 0x3f6eb680, v115
	v_mov_b32_e32 v132, v191
	v_add_f32_e32 v46, v137, v46
	v_fmac_f32_e32 v139, 0xbf7ee86f, v123
	v_add_f32_e32 v190, v48, v190
	v_fmac_f32_e32 v132, 0x3f3d2fb0, v116
	v_mul_f32_e32 v134, 0xbf65296c, v134
	v_add_f32_e32 v46, v139, v46
	v_fmac_f32_e32 v142, 0xbf763a35, v125
	v_add_f32_e32 v132, v132, v190
	v_mov_b32_e32 v190, v134
	v_add_f32_e32 v46, v142, v46
	v_fmac_f32_e32 v144, 0xbf4c4adb, v127
	v_fmac_f32_e32 v190, 0x3ee437d1, v118
	v_mul_f32_e32 v136, 0xbf7ee86f, v136
	v_add_f32_e32 v46, v144, v46
	v_fmac_f32_e32 v145, 0xbf06c442, v129
	v_add_f32_e32 v132, v190, v132
	v_mov_b32_e32 v190, v136
	v_add_f32_e32 v46, v145, v46
	v_fmac_f32_e32 v146, 0xbe3c28d5, v130
	v_fmac_f32_e32 v248, 0xbf7ba420, v115
	;; [unrolled: 1-line block ×3, first 2 shown]
	v_mul_f32_e32 v138, 0xbf763a35, v138
	v_add_f32_e32 v47, v146, v46
	v_fma_f32 v46, v115, s19, -v131
	v_add_f32_e32 v102, v102, v101
	v_add_f32_e32 v101, v48, v248
	;; [unrolled: 1-line block ×3, first 2 shown]
	v_mov_b32_e32 v190, v138
	v_add_f32_e32 v46, v48, v46
	v_fma_f32 v48, v116, s18, -v191
	v_fmac_f32_e32 v190, 0xbe8c1d8e, v122
	v_mul_f32_e32 v140, 0xbf4c4adb, v140
	v_add_f32_e32 v46, v48, v46
	v_fma_f32 v48, v118, s20, -v134
	v_add_f32_e32 v132, v190, v132
	v_mov_b32_e32 v190, v140
	v_add_f32_e32 v46, v48, v46
	v_fma_f32 v48, v120, s14, -v136
	v_fmac_f32_e32 v190, 0xbf1a4643, v124
	v_mul_f32_e32 v141, 0xbf06c442, v141
	v_add_f32_e32 v46, v48, v46
	v_fma_f32 v48, v122, s15, -v138
	v_add_f32_e32 v132, v190, v132
	;; [unrolled: 8-line block ×3, first 2 shown]
	v_mov_b32_e32 v190, v143
	v_add_f32_e32 v46, v48, v46
	v_fma_f32 v48, v128, s16, -v143
	v_fmac_f32_e32 v190, 0xbf7ba420, v128
	v_add_f32_e32 v46, v48, v46
	v_mul_lo_u16_e32 v48, 17, v104
	v_add_f32_e32 v132, v190, v132
	v_add_f32_e32 v1, v74, v1
	;; [unrolled: 1-line block ×3, first 2 shown]
	v_lshlrev_b32_e32 v48, 3, v48
	ds_write2_b64 v48, v[0:1], v[132:133] offset1:1
	ds_write2_b64 v48, v[151:152], v[149:150] offset0:2 offset1:3
	ds_write2_b64 v48, v[147:148], v[167:168] offset0:4 offset1:5
	;; [unrolled: 1-line block ×3, first 2 shown]
	v_mov_b32_e32 v106, v108
	v_mov_b32_e32 v108, v110
	v_mov_b32_e32 v110, v112
	v_mov_b32_e32 v112, v109
	v_mov_b32_e32 v179, v107
	v_mov_b32_e32 v107, v111
	v_mov_b32_e32 v109, v113
	buffer_load_dword v113, off, s[24:27], 0 offset:4 ; 4-byte Folded Reload
	buffer_load_dword v111, off, s[24:27], 0 ; 4-byte Folded Reload
	v_fmac_f32_e32 v249, 0x3f6eb680, v116
	v_add_f32_e32 v101, v249, v101
	v_fmac_f32_e32 v250, 0xbf59a7d5, v118
	v_add_f32_e32 v101, v250, v101
	;; [unrolled: 2-line block ×7, first 2 shown]
	ds_write2_b64 v48, v[101:102], v[99:100] offset0:8 offset1:9
	ds_write2_b64 v48, v[97:98], v[95:96] offset0:10 offset1:11
	;; [unrolled: 1-line block ×4, first 2 shown]
	ds_write_b64 v48, v[46:47] offset:128
.LBB0_17:
	s_or_b64 exec, exec, s[12:13]
	v_add_u32_e32 v44, 0x1400, v105
	s_waitcnt vmcnt(0) lgkmcnt(0)
	s_barrier
	ds_read2_b64 v[44:47], v44 offset0:74 offset1:193
	v_add_u32_e32 v48, 0x400, v105
	v_add_u32_e32 v50, 0x1c00, v105
	ds_read2_b64 v[51:54], v48 offset0:110 offset1:229
	ds_read2_b64 v[55:58], v50 offset0:56 offset1:175
	v_add_u32_e32 v48, 0x2400, v105
	ds_read2_b64 v[63:66], v48 offset0:38 offset1:157
	s_waitcnt lgkmcnt(3)
	v_mul_f32_e32 v48, v84, v45
	v_fmac_f32_e32 v48, v83, v44
	v_mul_f32_e32 v44, v84, v44
	v_fma_f32 v44, v83, v45, -v44
	v_mul_f32_e32 v45, v80, v47
	ds_read2_b64 v[0:3], v105 offset1:119
	v_add_u32_e32 v69, 0xc00, v105
	v_fmac_f32_e32 v45, v79, v46
	v_mul_f32_e32 v46, v80, v46
	ds_read2_b64 v[59:62], v69 offset0:92 offset1:211
	v_fma_f32 v46, v79, v47, -v46
	s_waitcnt lgkmcnt(3)
	v_mul_f32_e32 v47, v78, v56
	v_fmac_f32_e32 v47, v77, v55
	v_mul_f32_e32 v49, v78, v55
	v_mul_f32_e32 v55, v76, v57
	v_fma_f32 v71, v75, v58, -v55
	s_waitcnt lgkmcnt(2)
	v_mul_f32_e32 v55, v82, v63
	v_mul_f32_e32 v70, v76, v58
	;; [unrolled: 1-line block ×3, first 2 shown]
	v_fma_f32 v73, v81, v64, -v55
	v_mul_f32_e32 v74, v86, v66
	v_mul_f32_e32 v55, v86, v65
	v_fma_f32 v49, v77, v56, -v49
	v_fmac_f32_e32 v70, v75, v57
	v_fmac_f32_e32 v72, v81, v63
	;; [unrolled: 1-line block ×3, first 2 shown]
	v_fma_f32 v75, v85, v66, -v55
	s_waitcnt lgkmcnt(1)
	v_sub_f32_e32 v55, v0, v48
	v_sub_f32_e32 v56, v1, v44
	;; [unrolled: 1-line block ×3, first 2 shown]
	v_fma_f32 v57, v0, 2.0, -v55
	v_fma_f32 v58, v1, 2.0, -v56
	v_sub_f32_e32 v63, v2, v45
	v_sub_f32_e32 v64, v3, v46
	;; [unrolled: 1-line block ×3, first 2 shown]
	v_fma_f32 v51, v51, 2.0, -v67
	v_sub_f32_e32 v0, v53, v70
	v_sub_f32_e32 v1, v54, v71
	s_waitcnt lgkmcnt(0)
	v_sub_f32_e32 v44, v59, v72
	v_sub_f32_e32 v45, v60, v73
	;; [unrolled: 1-line block ×4, first 2 shown]
	v_fma_f32 v65, v2, 2.0, -v63
	v_fma_f32 v66, v3, 2.0, -v64
	;; [unrolled: 1-line block ×9, first 2 shown]
	s_barrier
	ds_write2_b64 v108, v[57:58], v[55:56] offset1:17
	ds_write2_b64 v109, v[65:66], v[63:64] offset1:17
	;; [unrolled: 1-line block ×6, first 2 shown]
	v_add_u32_e32 v51, 0x1800, v105
	s_waitcnt lgkmcnt(0)
	s_barrier
	ds_read2_b64 v[52:55], v105 offset1:204
	ds_read2_b64 v[60:63], v69 offset0:24 offset1:228
	ds_read2_b64 v[56:59], v51 offset0:48 offset1:252
	ds_read_b64 v[64:65], v105 offset:9792
	s_and_saveexec_b64 s[12:13], s[2:3]
	s_cbranch_execz .LBB0_19
; %bb.18:
	v_add_u32_e32 v0, 0x300, v105
	ds_read2_b64 v[0:3], v0 offset0:23 offset1:227
	v_add_u32_e32 v44, 0x1000, v105
	ds_read2_b64 v[48:51], v50 offset0:39 offset1:243
	ds_read2_b64 v[44:47], v44 offset0:15 offset1:219
	ds_read_b64 v[93:94], v105 offset:10744
	s_waitcnt lgkmcnt(2)
	v_mov_b32_e32 v91, v50
	v_mov_b32_e32 v92, v51
.LBB0_19:
	s_or_b64 exec, exec, s[12:13]
	s_waitcnt lgkmcnt(3)
	v_mul_f32_e32 v50, v25, v55
	v_mul_f32_e32 v25, v25, v54
	v_fmac_f32_e32 v50, v24, v54
	v_fma_f32 v24, v24, v55, -v25
	s_waitcnt lgkmcnt(2)
	v_mul_f32_e32 v25, v27, v61
	v_mul_f32_e32 v27, v27, v60
	v_fmac_f32_e32 v25, v26, v60
	v_fma_f32 v26, v26, v61, -v27
	v_mul_f32_e32 v27, v21, v63
	v_mul_f32_e32 v21, v21, v62
	v_fmac_f32_e32 v27, v20, v62
	v_fma_f32 v20, v20, v63, -v21
	s_waitcnt lgkmcnt(1)
	v_mul_f32_e32 v21, v23, v57
	v_mul_f32_e32 v23, v23, v56
	v_fmac_f32_e32 v21, v22, v56
	v_fma_f32 v22, v22, v57, -v23
	;; [unrolled: 9-line block ×3, first 2 shown]
	v_add_f32_e32 v19, v50, v17
	v_add_f32_e32 v51, v24, v18
	v_sub_f32_e32 v18, v24, v18
	v_add_f32_e32 v24, v25, v23
	v_sub_f32_e32 v17, v50, v17
	;; [unrolled: 2-line block ×3, first 2 shown]
	v_sub_f32_e32 v16, v26, v16
	v_add_f32_e32 v25, v27, v21
	v_add_f32_e32 v26, v20, v22
	v_sub_f32_e32 v20, v22, v20
	v_add_f32_e32 v22, v24, v19
	v_sub_f32_e32 v21, v21, v27
	v_add_f32_e32 v27, v50, v51
	v_add_f32_e32 v22, v25, v22
	v_sub_f32_e32 v54, v24, v19
	v_sub_f32_e32 v19, v19, v25
	;; [unrolled: 1-line block ×3, first 2 shown]
	v_add_f32_e32 v56, v21, v23
	v_add_f32_e32 v57, v20, v16
	v_sub_f32_e32 v59, v20, v16
	v_sub_f32_e32 v60, v16, v18
	v_add_f32_e32 v25, v26, v27
	v_add_f32_e32 v16, v52, v22
	v_sub_f32_e32 v55, v50, v51
	v_sub_f32_e32 v51, v51, v26
	;; [unrolled: 1-line block ×6, first 2 shown]
	v_add_f32_e32 v26, v56, v17
	v_add_f32_e32 v17, v53, v25
	v_mul_f32_e32 v56, 0x3f08b237, v59
	v_mov_b32_e32 v59, v16
	v_sub_f32_e32 v20, v18, v20
	v_mul_f32_e32 v19, 0x3f4a47b2, v19
	v_mul_f32_e32 v27, 0x3f4a47b2, v51
	v_mul_f32_e32 v51, 0x3d64c772, v24
	v_mul_f32_e32 v52, 0x3d64c772, v50
	v_mul_f32_e32 v53, 0x3f08b237, v58
	s_mov_b32 s14, 0xbf5ff5aa
	v_fmac_f32_e32 v59, 0xbf955555, v22
	v_mov_b32_e32 v22, v17
	s_mov_b32 s15, 0x3f3bfb3b
	s_mov_b32 s16, 0xbf3bfb3b
	v_add_f32_e32 v18, v57, v18
	v_mul_f32_e32 v57, 0xbf5ff5aa, v23
	v_mul_f32_e32 v58, 0xbf5ff5aa, v60
	v_fmac_f32_e32 v22, 0xbf955555, v25
	v_fma_f32 v25, v54, s15, -v51
	v_fma_f32 v51, v55, s15, -v52
	;; [unrolled: 1-line block ×3, first 2 shown]
	v_fmac_f32_e32 v19, 0x3d64c772, v24
	v_fma_f32 v24, v55, s16, -v27
	v_fmac_f32_e32 v27, 0x3d64c772, v50
	v_fma_f32 v50, v23, s14, -v53
	;; [unrolled: 2-line block ×3, first 2 shown]
	v_fmac_f32_e32 v56, 0xbeae86e6, v20
	s_mov_b32 s17, 0x3eae86e6
	v_fma_f32 v55, v21, s17, -v57
	v_fma_f32 v57, v20, s17, -v58
	v_add_f32_e32 v58, v19, v59
	v_add_f32_e32 v60, v27, v22
	v_fmac_f32_e32 v53, 0xbee1c552, v26
	v_fmac_f32_e32 v56, 0xbee1c552, v18
	v_add_f32_e32 v25, v25, v59
	v_add_f32_e32 v27, v51, v22
	;; [unrolled: 1-line block ×4, first 2 shown]
	v_fmac_f32_e32 v50, 0xbee1c552, v26
	v_fmac_f32_e32 v54, 0xbee1c552, v18
	v_fmac_f32_e32 v55, 0xbee1c552, v26
	v_fmac_f32_e32 v57, 0xbee1c552, v18
	v_add_f32_e32 v18, v56, v58
	v_sub_f32_e32 v19, v60, v53
	v_add_f32_e32 v20, v57, v51
	v_sub_f32_e32 v21, v52, v55
	v_sub_f32_e32 v22, v25, v54
	v_add_f32_e32 v23, v50, v27
	v_add_f32_e32 v24, v54, v25
	v_sub_f32_e32 v25, v27, v50
	v_sub_f32_e32 v26, v51, v57
	v_add_f32_e32 v27, v55, v52
	v_sub_f32_e32 v50, v58, v56
	v_add_f32_e32 v51, v53, v60
	s_barrier
	ds_write2_b64 v114, v[16:17], v[18:19] offset1:34
	ds_write2_b64 v114, v[20:21], v[22:23] offset0:68 offset1:102
	ds_write2_b64 v114, v[24:25], v[26:27] offset0:136 offset1:170
	ds_write_b64 v114, v[50:51] offset:1632
	s_and_saveexec_b64 s[12:13], s[2:3]
	s_cbranch_execz .LBB0_21
; %bb.20:
	v_mul_f32_e32 v16, v13, v3
	v_fmac_f32_e32 v16, v12, v2
	v_mul_f32_e32 v2, v13, v2
	v_mul_f32_e32 v17, v7, v94
	;; [unrolled: 1-line block ×4, first 2 shown]
	v_fma_f32 v2, v12, v3, -v2
	v_mul_f32_e32 v3, v9, v46
	v_fmac_f32_e32 v17, v6, v93
	v_fmac_f32_e32 v19, v10, v48
	;; [unrolled: 1-line block ×3, first 2 shown]
	v_mul_f32_e32 v24, v5, v92
	v_mul_f32_e32 v7, v7, v93
	v_fma_f32 v8, v8, v47, -v3
	v_mul_f32_e32 v3, v11, v48
	v_mul_f32_e32 v5, v5, v91
	v_sub_f32_e32 v18, v16, v17
	v_mul_f32_e32 v23, v15, v45
	v_fmac_f32_e32 v24, v4, v91
	v_fma_f32 v6, v6, v94, -v7
	v_fma_f32 v9, v10, v49, -v3
	v_fma_f32 v4, v4, v92, -v5
	v_mul_f32_e32 v5, v15, v44
	v_add_f32_e32 v15, v17, v16
	v_add_f32_e32 v16, v19, v20
	v_fmac_f32_e32 v23, v14, v44
	v_add_f32_e32 v7, v6, v2
	v_add_f32_e32 v3, v9, v8
	v_sub_f32_e32 v17, v15, v16
	v_sub_f32_e32 v21, v19, v20
	;; [unrolled: 1-line block ×3, first 2 shown]
	v_fma_f32 v5, v14, v45, -v5
	v_mul_f32_e32 v17, 0x3f4a47b2, v17
	v_add_f32_e32 v19, v24, v23
	v_sub_f32_e32 v25, v23, v24
	v_mul_f32_e32 v10, 0x3f4a47b2, v10
	v_add_f32_e32 v11, v4, v5
	v_sub_f32_e32 v20, v16, v19
	v_mov_b32_e32 v24, v17
	v_sub_f32_e32 v12, v3, v11
	v_mov_b32_e32 v14, v10
	v_mul_f32_e32 v23, 0x3d64c772, v20
	v_fmac_f32_e32 v24, 0x3d64c772, v20
	v_add_f32_e32 v20, v19, v15
	v_mul_f32_e32 v13, 0x3d64c772, v12
	v_fmac_f32_e32 v14, 0x3d64c772, v12
	v_add_f32_e32 v12, v11, v7
	v_add_f32_e32 v16, v16, v20
	v_sub_f32_e32 v22, v18, v21
	v_sub_f32_e32 v26, v21, v25
	v_add_f32_e32 v21, v21, v25
	v_add_f32_e32 v3, v3, v12
	v_add_f32_e32 v0, v0, v16
	v_sub_f32_e32 v6, v2, v6
	v_sub_f32_e32 v2, v9, v8
	;; [unrolled: 1-line block ×3, first 2 shown]
	v_mul_f32_e32 v26, 0x3f08b237, v26
	v_add_f32_e32 v21, v21, v18
	v_add_f32_e32 v1, v1, v3
	v_mov_b32_e32 v20, v0
	v_sub_f32_e32 v8, v6, v2
	v_sub_f32_e32 v5, v2, v4
	v_add_f32_e32 v2, v2, v4
	v_sub_f32_e32 v18, v25, v18
	v_mov_b32_e32 v27, v26
	v_mov_b32_e32 v12, v1
	v_fmac_f32_e32 v20, 0xbf955555, v16
	v_mul_f32_e32 v9, 0x3f08b237, v5
	v_add_f32_e32 v44, v2, v6
	v_mul_f32_e32 v5, 0xbf5ff5aa, v18
	v_sub_f32_e32 v7, v11, v7
	v_sub_f32_e32 v6, v4, v6
	v_fmac_f32_e32 v27, 0xbeae86e6, v22
	v_fmac_f32_e32 v12, 0xbf955555, v3
	v_add_f32_e32 v16, v24, v20
	v_mov_b32_e32 v24, v9
	v_fma_f32 v22, v22, s17, -v5
	v_fma_f32 v5, v7, s16, -v10
	v_sub_f32_e32 v11, v19, v15
	v_mul_f32_e32 v4, 0xbf5ff5aa, v6
	v_fma_f32 v7, v7, s15, -v13
	v_add_f32_e32 v14, v14, v12
	v_fmac_f32_e32 v24, 0xbeae86e6, v8
	v_add_f32_e32 v10, v5, v12
	v_fma_f32 v15, v11, s16, -v17
	v_fma_f32 v17, v8, s17, -v4
	v_add_f32_e32 v8, v7, v12
	v_fma_f32 v12, v18, s14, -v26
	v_fma_f32 v13, v6, s14, -v9
	;; [unrolled: 1-line block ×3, first 2 shown]
	v_fmac_f32_e32 v27, 0xbee1c552, v21
	v_fmac_f32_e32 v12, 0xbee1c552, v21
	;; [unrolled: 1-line block ×3, first 2 shown]
	v_add_f32_e32 v11, v6, v20
	v_add_f32_e32 v3, v27, v14
	v_fmac_f32_e32 v24, 0xbee1c552, v44
	v_sub_f32_e32 v7, v8, v12
	v_add_f32_e32 v6, v13, v11
	v_add_f32_e32 v9, v12, v8
	v_sub_f32_e32 v8, v11, v13
	v_sub_f32_e32 v13, v14, v27
	v_mul_u32_u24_e32 v14, 0xee, v106
	v_fmac_f32_e32 v22, 0xbee1c552, v21
	v_add_f32_e32 v15, v15, v20
	v_fmac_f32_e32 v17, 0xbee1c552, v44
	v_add_f32_e32 v12, v24, v16
	v_add_lshl_u32 v14, v14, v107, 3
	v_sub_f32_e32 v2, v16, v24
	v_add_f32_e32 v5, v22, v10
	v_sub_f32_e32 v4, v15, v17
	v_sub_f32_e32 v11, v10, v22
	v_add_f32_e32 v10, v17, v15
	ds_write2_b64 v14, v[0:1], v[12:13] offset1:34
	ds_write2_b64 v14, v[10:11], v[8:9] offset0:68 offset1:102
	ds_write2_b64 v14, v[6:7], v[4:5] offset0:136 offset1:170
	ds_write_b64 v14, v[2:3] offset:1632
.LBB0_21:
	s_or_b64 exec, exec, s[12:13]
	v_add_u32_e32 v24, 0x400, v105
	s_waitcnt lgkmcnt(0)
	s_barrier
	ds_read2_b64 v[4:7], v24 offset0:110 offset1:229
	v_add_u32_e32 v25, 0xc00, v105
	ds_read2_b64 v[8:11], v25 offset0:92 offset1:211
	v_add_u32_e32 v26, 0x1400, v105
	;; [unrolled: 2-line block ×4, first 2 shown]
	ds_read2_b64 v[20:23], v44 offset0:38 offset1:157
	s_waitcnt lgkmcnt(4)
	v_mul_f32_e32 v45, v33, v5
	v_fmac_f32_e32 v45, v32, v4
	v_mul_f32_e32 v4, v33, v4
	v_fma_f32 v32, v32, v5, -v4
	s_waitcnt lgkmcnt(3)
	v_mul_f32_e32 v4, v35, v9
	v_fmac_f32_e32 v4, v34, v8
	v_mul_f32_e32 v5, v35, v8
	s_waitcnt lgkmcnt(2)
	v_mul_f32_e32 v8, v29, v13
	v_fma_f32 v5, v34, v9, -v5
	v_fmac_f32_e32 v8, v28, v12
	v_mul_f32_e32 v9, v29, v12
	s_waitcnt lgkmcnt(1)
	v_mul_f32_e32 v12, v31, v17
	v_fma_f32 v9, v28, v13, -v9
	;; [unrolled: 5-line block ×3, first 2 shown]
	v_fmac_f32_e32 v16, v87, v20
	v_mul_f32_e32 v17, v88, v20
	v_mul_f32_e32 v20, v41, v7
	ds_read2_b64 v[0:3], v105 offset1:119
	v_fmac_f32_e32 v20, v40, v6
	v_mul_f32_e32 v6, v41, v6
	v_fma_f32 v17, v87, v21, -v17
	v_fma_f32 v21, v40, v7, -v6
	v_mul_f32_e32 v6, v43, v10
	v_fma_f32 v29, v42, v11, -v6
	v_mul_f32_e32 v30, v37, v15
	v_mul_f32_e32 v6, v37, v14
	v_fmac_f32_e32 v30, v36, v14
	v_fma_f32 v14, v36, v15, -v6
	v_mul_f32_e32 v15, v39, v19
	v_mul_f32_e32 v6, v39, v18
	v_fmac_f32_e32 v15, v38, v18
	v_fma_f32 v18, v38, v19, -v6
	v_mul_f32_e32 v19, v90, v23
	v_mul_f32_e32 v6, v90, v22
	;; [unrolled: 1-line block ×3, first 2 shown]
	v_fmac_f32_e32 v19, v89, v22
	v_fma_f32 v22, v89, v23, -v6
	s_waitcnt lgkmcnt(0)
	v_add_f32_e32 v6, v0, v4
	v_fmac_f32_e32 v28, v42, v10
	v_add_f32_e32 v10, v6, v12
	v_add_f32_e32 v6, v4, v12
	v_fma_f32 v11, -0.5, v6, v0
	v_sub_f32_e32 v0, v5, v13
	v_mov_b32_e32 v23, v11
	v_fmac_f32_e32 v23, 0xbf5db3d7, v0
	v_fmac_f32_e32 v11, 0x3f5db3d7, v0
	v_add_f32_e32 v0, v1, v5
	v_add_f32_e32 v31, v0, v13
	;; [unrolled: 1-line block ×3, first 2 shown]
	v_fma_f32 v13, -0.5, v0, v1
	v_sub_f32_e32 v0, v4, v12
	v_mov_b32_e32 v33, v13
	v_fmac_f32_e32 v33, 0x3f5db3d7, v0
	v_fmac_f32_e32 v13, 0xbf5db3d7, v0
	v_add_f32_e32 v0, v45, v8
	v_add_f32_e32 v12, v0, v16
	;; [unrolled: 1-line block ×3, first 2 shown]
	v_fmac_f32_e32 v45, -0.5, v0
	v_sub_f32_e32 v0, v9, v17
	v_mov_b32_e32 v5, v45
	v_fmac_f32_e32 v5, 0xbf5db3d7, v0
	v_fmac_f32_e32 v45, 0x3f5db3d7, v0
	v_add_f32_e32 v0, v32, v9
	v_add_f32_e32 v34, v0, v17
	;; [unrolled: 1-line block ×3, first 2 shown]
	v_fmac_f32_e32 v32, -0.5, v0
	v_sub_f32_e32 v0, v8, v16
	v_mov_b32_e32 v7, v32
	v_fmac_f32_e32 v32, 0xbf5db3d7, v0
	v_fmac_f32_e32 v7, 0x3f5db3d7, v0
	v_mul_f32_e32 v16, 0xbf5db3d7, v32
	v_mul_f32_e32 v9, 0xbf5db3d7, v7
	v_fmac_f32_e32 v16, -0.5, v45
	v_add_f32_e32 v0, v10, v12
	v_fmac_f32_e32 v9, 0.5, v5
	v_add_f32_e32 v6, v11, v16
	v_sub_f32_e32 v8, v10, v12
	v_sub_f32_e32 v12, v11, v16
	v_add_f32_e32 v16, v2, v28
	v_add_f32_e32 v4, v23, v9
	v_sub_f32_e32 v10, v23, v9
	v_add_f32_e32 v23, v16, v15
	v_add_f32_e32 v16, v28, v15
	v_fma_f32 v2, -0.5, v16, v2
	v_add_f32_e32 v1, v31, v34
	v_mul_f32_e32 v32, -0.5, v32
	v_sub_f32_e32 v9, v31, v34
	v_sub_f32_e32 v16, v29, v18
	v_mov_b32_e32 v31, v2
	v_fmac_f32_e32 v32, 0x3f5db3d7, v45
	v_fmac_f32_e32 v31, 0xbf5db3d7, v16
	;; [unrolled: 1-line block ×3, first 2 shown]
	v_add_f32_e32 v16, v3, v29
	v_mul_f32_e32 v17, 0.5, v7
	v_add_f32_e32 v7, v13, v32
	v_sub_f32_e32 v13, v13, v32
	v_add_f32_e32 v32, v16, v18
	v_add_f32_e32 v16, v29, v18
	v_fmac_f32_e32 v3, -0.5, v16
	v_sub_f32_e32 v15, v28, v15
	v_mov_b32_e32 v28, v3
	v_fmac_f32_e32 v28, 0x3f5db3d7, v15
	v_fmac_f32_e32 v3, 0xbf5db3d7, v15
	v_add_f32_e32 v15, v20, v30
	v_add_f32_e32 v29, v15, v19
	;; [unrolled: 1-line block ×3, first 2 shown]
	v_fmac_f32_e32 v17, 0x3f5db3d7, v5
	v_fmac_f32_e32 v20, -0.5, v15
	v_add_f32_e32 v5, v33, v17
	v_sub_f32_e32 v11, v33, v17
	v_sub_f32_e32 v15, v14, v22
	v_mov_b32_e32 v17, v20
	v_fmac_f32_e32 v17, 0xbf5db3d7, v15
	v_fmac_f32_e32 v20, 0x3f5db3d7, v15
	v_add_f32_e32 v15, v21, v14
	v_add_f32_e32 v14, v14, v22
	v_fmac_f32_e32 v21, -0.5, v14
	v_sub_f32_e32 v14, v30, v19
	v_mov_b32_e32 v19, v21
	v_fmac_f32_e32 v19, 0x3f5db3d7, v14
	v_fmac_f32_e32 v21, 0xbf5db3d7, v14
	v_add_f32_e32 v33, v15, v22
	v_mul_f32_e32 v22, 0xbf5db3d7, v19
	v_mul_f32_e32 v30, 0xbf5db3d7, v21
	v_mul_f32_e32 v34, 0.5, v19
	v_mul_f32_e32 v35, -0.5, v21
	v_add_f32_e32 v14, v23, v29
	v_fmac_f32_e32 v22, 0.5, v17
	v_fmac_f32_e32 v30, -0.5, v20
	v_add_f32_e32 v15, v32, v33
	v_fmac_f32_e32 v34, 0x3f5db3d7, v17
	v_fmac_f32_e32 v35, 0x3f5db3d7, v20
	v_add_f32_e32 v16, v31, v22
	v_add_f32_e32 v18, v2, v30
	;; [unrolled: 1-line block ×4, first 2 shown]
	v_sub_f32_e32 v20, v23, v29
	v_sub_f32_e32 v22, v31, v22
	;; [unrolled: 1-line block ×6, first 2 shown]
	ds_write2_b64 v105, v[0:1], v[14:15] offset1:119
	ds_write2_b64 v24, v[4:5], v[16:17] offset0:110 offset1:229
	ds_write2_b64 v25, v[6:7], v[18:19] offset0:92 offset1:211
	;; [unrolled: 1-line block ×5, first 2 shown]
	s_waitcnt lgkmcnt(0)
	s_barrier
	s_and_b64 exec, exec, s[0:1]
	s_cbranch_execz .LBB0_23
; %bb.22:
	global_load_dwordx2 v[0:1], v103, s[8:9]
	ds_read_b64 v[4:5], v105
	v_mad_u64_u32 v[2:3], s[0:1], s6, v179, 0
	v_mad_u64_u32 v[6:7], s[0:1], s4, v104, 0
	s_waitcnt lgkmcnt(0)
	v_mad_u64_u32 v[8:9], s[2:3], s7, v179, v[3:4]
	s_mov_b32 s0, 0x16f26017
	s_mov_b32 s1, 0x3f46f260
	v_mad_u64_u32 v[9:10], s[2:3], s5, v104, v[7:8]
	v_mov_b32_e32 v11, s11
	s_mul_i32 s3, s5, 0x2a0
	v_mov_b32_e32 v7, v9
	v_lshlrev_b64 v[6:7], 3, v[6:7]
	s_mul_hi_u32 s5, s4, 0x2a0
	s_mul_i32 s2, s4, 0x2a0
	s_add_i32 s3, s5, s3
	s_movk_i32 s4, 0x1000
	s_waitcnt vmcnt(0)
	v_mul_f32_e32 v3, v5, v1
	v_mul_f32_e32 v1, v4, v1
	v_fmac_f32_e32 v3, v4, v0
	v_fma_f32 v4, v0, v5, -v1
	v_cvt_f64_f32_e32 v[0:1], v3
	v_cvt_f64_f32_e32 v[4:5], v4
	v_mov_b32_e32 v3, v8
	v_lshlrev_b64 v[2:3], 3, v[2:3]
	v_mul_f64 v[0:1], v[0:1], s[0:1]
	v_mul_f64 v[4:5], v[4:5], s[0:1]
	v_add_co_u32_e32 v2, vcc, s10, v2
	v_addc_co_u32_e32 v3, vcc, v11, v3, vcc
	v_cvt_f32_f64_e32 v0, v[0:1]
	v_cvt_f32_f64_e32 v1, v[4:5]
	v_add_co_u32_e32 v4, vcc, v2, v6
	v_addc_co_u32_e32 v5, vcc, v3, v7, vcc
	global_store_dwordx2 v[4:5], v[0:1], off
	global_load_dwordx2 v[6:7], v103, s[8:9] offset:672
	ds_read2_b64 v[0:3], v103 offset0:84 offset1:168
	v_add_co_u32_e32 v4, vcc, s2, v4
	s_waitcnt vmcnt(0) lgkmcnt(0)
	v_mul_f32_e32 v8, v1, v7
	v_mul_f32_e32 v7, v0, v7
	v_fmac_f32_e32 v8, v0, v6
	v_fma_f32 v6, v6, v1, -v7
	v_cvt_f64_f32_e32 v[0:1], v8
	v_cvt_f64_f32_e32 v[6:7], v6
	v_mov_b32_e32 v8, s3
	v_addc_co_u32_e32 v5, vcc, v5, v8, vcc
	v_mul_f64 v[0:1], v[0:1], s[0:1]
	v_mul_f64 v[6:7], v[6:7], s[0:1]
	v_cvt_f32_f64_e32 v0, v[0:1]
	v_cvt_f32_f64_e32 v1, v[6:7]
	global_store_dwordx2 v[4:5], v[0:1], off
	global_load_dwordx2 v[0:1], v103, s[8:9] offset:1344
	v_add_co_u32_e32 v4, vcc, s2, v4
	s_waitcnt vmcnt(0)
	v_mul_f32_e32 v6, v3, v1
	v_mul_f32_e32 v1, v2, v1
	v_fmac_f32_e32 v6, v2, v0
	v_fma_f32 v2, v0, v3, -v1
	v_cvt_f64_f32_e32 v[0:1], v6
	v_cvt_f64_f32_e32 v[2:3], v2
	v_mov_b32_e32 v6, s3
	v_addc_co_u32_e32 v5, vcc, v5, v6, vcc
	v_mul_f64 v[0:1], v[0:1], s[0:1]
	v_mul_f64 v[2:3], v[2:3], s[0:1]
	v_cvt_f32_f64_e32 v0, v[0:1]
	v_cvt_f32_f64_e32 v1, v[2:3]
	global_store_dwordx2 v[4:5], v[0:1], off
	global_load_dwordx2 v[6:7], v103, s[8:9] offset:2016
	v_add_u32_e32 v0, 0x400, v103
	ds_read2_b64 v[0:3], v0 offset0:124 offset1:208
	v_add_co_u32_e32 v4, vcc, s2, v4
	s_waitcnt vmcnt(0) lgkmcnt(0)
	v_mul_f32_e32 v8, v1, v7
	v_mul_f32_e32 v7, v0, v7
	v_fmac_f32_e32 v8, v0, v6
	v_fma_f32 v6, v6, v1, -v7
	v_cvt_f64_f32_e32 v[0:1], v8
	v_cvt_f64_f32_e32 v[6:7], v6
	v_mov_b32_e32 v8, s3
	v_addc_co_u32_e32 v5, vcc, v5, v8, vcc
	v_mul_f64 v[0:1], v[0:1], s[0:1]
	v_mul_f64 v[6:7], v[6:7], s[0:1]
	v_cvt_f32_f64_e32 v0, v[0:1]
	v_cvt_f32_f64_e32 v1, v[6:7]
	global_store_dwordx2 v[4:5], v[0:1], off
	global_load_dwordx2 v[0:1], v103, s[8:9] offset:2688
	v_add_co_u32_e32 v4, vcc, s2, v4
	s_waitcnt vmcnt(0)
	v_mul_f32_e32 v6, v3, v1
	v_mul_f32_e32 v1, v2, v1
	v_fmac_f32_e32 v6, v2, v0
	v_fma_f32 v2, v0, v3, -v1
	v_cvt_f64_f32_e32 v[0:1], v6
	v_cvt_f64_f32_e32 v[2:3], v2
	v_mov_b32_e32 v6, s3
	v_addc_co_u32_e32 v5, vcc, v5, v6, vcc
	v_mul_f64 v[0:1], v[0:1], s[0:1]
	v_mul_f64 v[2:3], v[2:3], s[0:1]
	v_cvt_f32_f64_e32 v0, v[0:1]
	v_cvt_f32_f64_e32 v1, v[2:3]
	global_store_dwordx2 v[4:5], v[0:1], off
	global_load_dwordx2 v[6:7], v103, s[8:9] offset:3360
	v_add_u32_e32 v0, 0x800, v103
	ds_read2_b64 v[0:3], v0 offset0:164 offset1:248
	v_add_co_u32_e32 v4, vcc, s2, v4
	s_waitcnt vmcnt(0) lgkmcnt(0)
	v_mul_f32_e32 v8, v1, v7
	v_mul_f32_e32 v7, v0, v7
	v_fmac_f32_e32 v8, v0, v6
	v_fma_f32 v6, v6, v1, -v7
	v_cvt_f64_f32_e32 v[0:1], v8
	v_cvt_f64_f32_e32 v[6:7], v6
	v_mov_b32_e32 v8, s3
	v_addc_co_u32_e32 v5, vcc, v5, v8, vcc
	v_mul_f64 v[0:1], v[0:1], s[0:1]
	v_mul_f64 v[6:7], v[6:7], s[0:1]
	v_add_co_u32_e32 v10, vcc, s8, v103
	v_cvt_f32_f64_e32 v0, v[0:1]
	v_cvt_f32_f64_e32 v1, v[6:7]
	global_store_dwordx2 v[4:5], v[0:1], off
	global_load_dwordx2 v[0:1], v103, s[8:9] offset:4032
	s_waitcnt vmcnt(0)
	v_mul_f32_e32 v6, v3, v1
	v_mul_f32_e32 v1, v2, v1
	v_fmac_f32_e32 v6, v2, v0
	v_fma_f32 v2, v0, v3, -v1
	v_cvt_f64_f32_e32 v[0:1], v6
	v_cvt_f64_f32_e32 v[2:3], v2
	v_mov_b32_e32 v6, s9
	v_addc_co_u32_e32 v11, vcc, 0, v6, vcc
	v_mul_f64 v[0:1], v[0:1], s[0:1]
	v_mul_f64 v[2:3], v[2:3], s[0:1]
	v_add_co_u32_e32 v6, vcc, s4, v10
	v_addc_co_u32_e32 v7, vcc, 0, v11, vcc
	v_add_co_u32_e32 v4, vcc, s2, v4
	v_cvt_f32_f64_e32 v0, v[0:1]
	v_cvt_f32_f64_e32 v1, v[2:3]
	v_addc_co_u32_e32 v5, vcc, v5, v8, vcc
	s_movk_i32 s4, 0x2000
	global_store_dwordx2 v[4:5], v[0:1], off
	global_load_dwordx2 v[8:9], v[6:7], off offset:608
	v_add_u32_e32 v0, 0x1000, v103
	ds_read2_b64 v[0:3], v0 offset0:76 offset1:160
	v_add_co_u32_e32 v4, vcc, s2, v4
	s_waitcnt vmcnt(0) lgkmcnt(0)
	v_mul_f32_e32 v12, v1, v9
	v_mul_f32_e32 v9, v0, v9
	v_fmac_f32_e32 v12, v0, v8
	v_fma_f32 v8, v8, v1, -v9
	v_cvt_f64_f32_e32 v[0:1], v12
	v_cvt_f64_f32_e32 v[8:9], v8
	v_mov_b32_e32 v12, s3
	v_addc_co_u32_e32 v5, vcc, v5, v12, vcc
	v_mul_f64 v[0:1], v[0:1], s[0:1]
	v_mul_f64 v[8:9], v[8:9], s[0:1]
	v_cvt_f32_f64_e32 v0, v[0:1]
	v_cvt_f32_f64_e32 v1, v[8:9]
	global_store_dwordx2 v[4:5], v[0:1], off
	global_load_dwordx2 v[0:1], v[6:7], off offset:1280
	v_add_co_u32_e32 v4, vcc, s2, v4
	s_waitcnt vmcnt(0)
	v_mul_f32_e32 v8, v3, v1
	v_mul_f32_e32 v1, v2, v1
	v_fmac_f32_e32 v8, v2, v0
	v_fma_f32 v2, v0, v3, -v1
	v_cvt_f64_f32_e32 v[0:1], v8
	v_cvt_f64_f32_e32 v[2:3], v2
	v_mov_b32_e32 v8, s3
	v_addc_co_u32_e32 v5, vcc, v5, v8, vcc
	v_mul_f64 v[0:1], v[0:1], s[0:1]
	v_mul_f64 v[2:3], v[2:3], s[0:1]
	v_cvt_f32_f64_e32 v0, v[0:1]
	v_cvt_f32_f64_e32 v1, v[2:3]
	global_store_dwordx2 v[4:5], v[0:1], off
	global_load_dwordx2 v[8:9], v[6:7], off offset:1952
	v_add_u32_e32 v0, 0x1400, v103
	ds_read2_b64 v[0:3], v0 offset0:116 offset1:200
	v_add_co_u32_e32 v4, vcc, s2, v4
	s_waitcnt vmcnt(0) lgkmcnt(0)
	v_mul_f32_e32 v12, v1, v9
	v_mul_f32_e32 v9, v0, v9
	v_fmac_f32_e32 v12, v0, v8
	v_fma_f32 v8, v8, v1, -v9
	v_cvt_f64_f32_e32 v[0:1], v12
	v_cvt_f64_f32_e32 v[8:9], v8
	v_mov_b32_e32 v12, s3
	v_addc_co_u32_e32 v5, vcc, v5, v12, vcc
	v_mul_f64 v[0:1], v[0:1], s[0:1]
	v_mul_f64 v[8:9], v[8:9], s[0:1]
	v_cvt_f32_f64_e32 v0, v[0:1]
	v_cvt_f32_f64_e32 v1, v[8:9]
	global_store_dwordx2 v[4:5], v[0:1], off
	global_load_dwordx2 v[0:1], v[6:7], off offset:2624
	v_add_co_u32_e32 v4, vcc, s2, v4
	s_waitcnt vmcnt(0)
	v_mul_f32_e32 v8, v3, v1
	v_mul_f32_e32 v1, v2, v1
	v_fmac_f32_e32 v8, v2, v0
	v_fma_f32 v2, v0, v3, -v1
	v_cvt_f64_f32_e32 v[0:1], v8
	v_cvt_f64_f32_e32 v[2:3], v2
	v_mov_b32_e32 v8, s3
	v_addc_co_u32_e32 v5, vcc, v5, v8, vcc
	v_mul_f64 v[0:1], v[0:1], s[0:1]
	v_mul_f64 v[2:3], v[2:3], s[0:1]
	v_cvt_f32_f64_e32 v0, v[0:1]
	v_cvt_f32_f64_e32 v1, v[2:3]
	global_store_dwordx2 v[4:5], v[0:1], off
	global_load_dwordx2 v[8:9], v[6:7], off offset:3296
	v_add_u32_e32 v0, 0x1800, v103
	ds_read2_b64 v[0:3], v0 offset0:156 offset1:240
	v_add_co_u32_e32 v4, vcc, s2, v4
	s_waitcnt vmcnt(0) lgkmcnt(0)
	v_mul_f32_e32 v12, v1, v9
	v_mul_f32_e32 v9, v0, v9
	v_fmac_f32_e32 v12, v0, v8
	v_fma_f32 v8, v8, v1, -v9
	v_cvt_f64_f32_e32 v[0:1], v12
	v_cvt_f64_f32_e32 v[8:9], v8
	v_mov_b32_e32 v12, s3
	v_addc_co_u32_e32 v5, vcc, v5, v12, vcc
	v_mul_f64 v[0:1], v[0:1], s[0:1]
	v_mul_f64 v[8:9], v[8:9], s[0:1]
	v_cvt_f32_f64_e32 v0, v[0:1]
	v_cvt_f32_f64_e32 v1, v[8:9]
	v_mov_b32_e32 v8, s3
	global_store_dwordx2 v[4:5], v[0:1], off
	global_load_dwordx2 v[0:1], v[6:7], off offset:3968
	s_waitcnt vmcnt(0)
	v_mul_f32_e32 v6, v3, v1
	v_mul_f32_e32 v1, v2, v1
	v_fmac_f32_e32 v6, v2, v0
	v_fma_f32 v2, v0, v3, -v1
	v_cvt_f64_f32_e32 v[0:1], v6
	v_cvt_f64_f32_e32 v[2:3], v2
	v_add_co_u32_e32 v6, vcc, s4, v10
	v_mul_f64 v[0:1], v[0:1], s[0:1]
	v_mul_f64 v[2:3], v[2:3], s[0:1]
	v_addc_co_u32_e32 v7, vcc, 0, v11, vcc
	v_add_co_u32_e32 v4, vcc, s2, v4
	v_addc_co_u32_e32 v5, vcc, v5, v8, vcc
	v_cvt_f32_f64_e32 v0, v[0:1]
	v_cvt_f32_f64_e32 v1, v[2:3]
	global_store_dwordx2 v[4:5], v[0:1], off
	global_load_dwordx2 v[8:9], v[6:7], off offset:544
	v_add_u32_e32 v0, 0x2000, v103
	ds_read2_b64 v[0:3], v0 offset0:68 offset1:152
	v_add_co_u32_e32 v4, vcc, s2, v4
	s_waitcnt vmcnt(0) lgkmcnt(0)
	v_mul_f32_e32 v10, v1, v9
	v_mul_f32_e32 v9, v0, v9
	v_fmac_f32_e32 v10, v0, v8
	v_fma_f32 v8, v8, v1, -v9
	v_cvt_f64_f32_e32 v[0:1], v10
	v_cvt_f64_f32_e32 v[8:9], v8
	v_mov_b32_e32 v10, s3
	v_addc_co_u32_e32 v5, vcc, v5, v10, vcc
	v_mul_f64 v[0:1], v[0:1], s[0:1]
	v_mul_f64 v[8:9], v[8:9], s[0:1]
	v_cvt_f32_f64_e32 v0, v[0:1]
	v_cvt_f32_f64_e32 v1, v[8:9]
	global_store_dwordx2 v[4:5], v[0:1], off
	global_load_dwordx2 v[0:1], v[6:7], off offset:1216
	v_add_co_u32_e32 v4, vcc, s2, v4
	s_waitcnt vmcnt(0)
	v_mul_f32_e32 v8, v3, v1
	v_mul_f32_e32 v1, v2, v1
	v_fmac_f32_e32 v8, v2, v0
	v_fma_f32 v2, v0, v3, -v1
	v_cvt_f64_f32_e32 v[0:1], v8
	v_cvt_f64_f32_e32 v[2:3], v2
	v_mov_b32_e32 v8, s3
	v_addc_co_u32_e32 v5, vcc, v5, v8, vcc
	v_mul_f64 v[0:1], v[0:1], s[0:1]
	v_mul_f64 v[2:3], v[2:3], s[0:1]
	v_cvt_f32_f64_e32 v0, v[0:1]
	v_cvt_f32_f64_e32 v1, v[2:3]
	global_store_dwordx2 v[4:5], v[0:1], off
	global_load_dwordx2 v[8:9], v[6:7], off offset:1888
	v_add_u32_e32 v0, 0x2400, v103
	ds_read2_b64 v[0:3], v0 offset0:108 offset1:192
	v_add_co_u32_e32 v4, vcc, s2, v4
	s_waitcnt vmcnt(0) lgkmcnt(0)
	v_mul_f32_e32 v10, v1, v9
	v_mul_f32_e32 v9, v0, v9
	v_fmac_f32_e32 v10, v0, v8
	v_fma_f32 v8, v8, v1, -v9
	v_cvt_f64_f32_e32 v[0:1], v10
	v_cvt_f64_f32_e32 v[8:9], v8
	v_mov_b32_e32 v10, s3
	v_addc_co_u32_e32 v5, vcc, v5, v10, vcc
	v_mul_f64 v[0:1], v[0:1], s[0:1]
	v_mul_f64 v[8:9], v[8:9], s[0:1]
	v_cvt_f32_f64_e32 v0, v[0:1]
	v_cvt_f32_f64_e32 v1, v[8:9]
	global_store_dwordx2 v[4:5], v[0:1], off
	global_load_dwordx2 v[0:1], v[6:7], off offset:2560
	s_waitcnt vmcnt(0)
	v_mul_f32_e32 v6, v3, v1
	v_mul_f32_e32 v1, v2, v1
	v_fmac_f32_e32 v6, v2, v0
	v_fma_f32 v2, v0, v3, -v1
	v_cvt_f64_f32_e32 v[0:1], v6
	v_cvt_f64_f32_e32 v[2:3], v2
	v_mov_b32_e32 v6, s3
	v_mul_f64 v[0:1], v[0:1], s[0:1]
	v_mul_f64 v[2:3], v[2:3], s[0:1]
	v_cvt_f32_f64_e32 v0, v[0:1]
	v_cvt_f32_f64_e32 v1, v[2:3]
	v_add_co_u32_e32 v2, vcc, s2, v4
	v_addc_co_u32_e32 v3, vcc, v5, v6, vcc
	global_store_dwordx2 v[2:3], v[0:1], off
.LBB0_23:
	s_endpgm
	.section	.rodata,"a",@progbits
	.p2align	6, 0x0
	.amdhsa_kernel bluestein_single_back_len1428_dim1_sp_op_CI_CI
		.amdhsa_group_segment_fixed_size 11424
		.amdhsa_private_segment_fixed_size 24
		.amdhsa_kernarg_size 104
		.amdhsa_user_sgpr_count 6
		.amdhsa_user_sgpr_private_segment_buffer 1
		.amdhsa_user_sgpr_dispatch_ptr 0
		.amdhsa_user_sgpr_queue_ptr 0
		.amdhsa_user_sgpr_kernarg_segment_ptr 1
		.amdhsa_user_sgpr_dispatch_id 0
		.amdhsa_user_sgpr_flat_scratch_init 0
		.amdhsa_user_sgpr_private_segment_size 0
		.amdhsa_uses_dynamic_stack 0
		.amdhsa_system_sgpr_private_segment_wavefront_offset 1
		.amdhsa_system_sgpr_workgroup_id_x 1
		.amdhsa_system_sgpr_workgroup_id_y 0
		.amdhsa_system_sgpr_workgroup_id_z 0
		.amdhsa_system_sgpr_workgroup_info 0
		.amdhsa_system_vgpr_workitem_id 0
		.amdhsa_next_free_vgpr 256
		.amdhsa_next_free_sgpr 28
		.amdhsa_reserve_vcc 1
		.amdhsa_reserve_flat_scratch 0
		.amdhsa_float_round_mode_32 0
		.amdhsa_float_round_mode_16_64 0
		.amdhsa_float_denorm_mode_32 3
		.amdhsa_float_denorm_mode_16_64 3
		.amdhsa_dx10_clamp 1
		.amdhsa_ieee_mode 1
		.amdhsa_fp16_overflow 0
		.amdhsa_exception_fp_ieee_invalid_op 0
		.amdhsa_exception_fp_denorm_src 0
		.amdhsa_exception_fp_ieee_div_zero 0
		.amdhsa_exception_fp_ieee_overflow 0
		.amdhsa_exception_fp_ieee_underflow 0
		.amdhsa_exception_fp_ieee_inexact 0
		.amdhsa_exception_int_div_zero 0
	.end_amdhsa_kernel
	.text
.Lfunc_end0:
	.size	bluestein_single_back_len1428_dim1_sp_op_CI_CI, .Lfunc_end0-bluestein_single_back_len1428_dim1_sp_op_CI_CI
                                        ; -- End function
	.section	.AMDGPU.csdata,"",@progbits
; Kernel info:
; codeLenInByte = 20528
; NumSgprs: 32
; NumVgprs: 256
; ScratchSize: 24
; MemoryBound: 0
; FloatMode: 240
; IeeeMode: 1
; LDSByteSize: 11424 bytes/workgroup (compile time only)
; SGPRBlocks: 3
; VGPRBlocks: 63
; NumSGPRsForWavesPerEU: 32
; NumVGPRsForWavesPerEU: 256
; Occupancy: 1
; WaveLimiterHint : 1
; COMPUTE_PGM_RSRC2:SCRATCH_EN: 1
; COMPUTE_PGM_RSRC2:USER_SGPR: 6
; COMPUTE_PGM_RSRC2:TRAP_HANDLER: 0
; COMPUTE_PGM_RSRC2:TGID_X_EN: 1
; COMPUTE_PGM_RSRC2:TGID_Y_EN: 0
; COMPUTE_PGM_RSRC2:TGID_Z_EN: 0
; COMPUTE_PGM_RSRC2:TIDIG_COMP_CNT: 0
	.type	__hip_cuid_6655af922348673c,@object ; @__hip_cuid_6655af922348673c
	.section	.bss,"aw",@nobits
	.globl	__hip_cuid_6655af922348673c
__hip_cuid_6655af922348673c:
	.byte	0                               ; 0x0
	.size	__hip_cuid_6655af922348673c, 1

	.ident	"AMD clang version 19.0.0git (https://github.com/RadeonOpenCompute/llvm-project roc-6.4.0 25133 c7fe45cf4b819c5991fe208aaa96edf142730f1d)"
	.section	".note.GNU-stack","",@progbits
	.addrsig
	.addrsig_sym __hip_cuid_6655af922348673c
	.amdgpu_metadata
---
amdhsa.kernels:
  - .args:
      - .actual_access:  read_only
        .address_space:  global
        .offset:         0
        .size:           8
        .value_kind:     global_buffer
      - .actual_access:  read_only
        .address_space:  global
        .offset:         8
        .size:           8
        .value_kind:     global_buffer
      - .actual_access:  read_only
        .address_space:  global
        .offset:         16
        .size:           8
        .value_kind:     global_buffer
      - .actual_access:  read_only
        .address_space:  global
        .offset:         24
        .size:           8
        .value_kind:     global_buffer
      - .actual_access:  read_only
        .address_space:  global
        .offset:         32
        .size:           8
        .value_kind:     global_buffer
      - .offset:         40
        .size:           8
        .value_kind:     by_value
      - .address_space:  global
        .offset:         48
        .size:           8
        .value_kind:     global_buffer
      - .address_space:  global
        .offset:         56
        .size:           8
        .value_kind:     global_buffer
      - .address_space:  global
        .offset:         64
        .size:           8
        .value_kind:     global_buffer
      - .address_space:  global
        .offset:         72
        .size:           8
        .value_kind:     global_buffer
      - .offset:         80
        .size:           4
        .value_kind:     by_value
      - .address_space:  global
        .offset:         88
        .size:           8
        .value_kind:     global_buffer
      - .address_space:  global
        .offset:         96
        .size:           8
        .value_kind:     global_buffer
    .group_segment_fixed_size: 11424
    .kernarg_segment_align: 8
    .kernarg_segment_size: 104
    .language:       OpenCL C
    .language_version:
      - 2
      - 0
    .max_flat_workgroup_size: 119
    .name:           bluestein_single_back_len1428_dim1_sp_op_CI_CI
    .private_segment_fixed_size: 24
    .sgpr_count:     32
    .sgpr_spill_count: 0
    .symbol:         bluestein_single_back_len1428_dim1_sp_op_CI_CI.kd
    .uniform_work_group_size: 1
    .uses_dynamic_stack: false
    .vgpr_count:     256
    .vgpr_spill_count: 7
    .wavefront_size: 64
amdhsa.target:   amdgcn-amd-amdhsa--gfx906
amdhsa.version:
  - 1
  - 2
...

	.end_amdgpu_metadata
